;; amdgpu-corpus repo=zjin-lcf/HeCBench kind=compiled arch=gfx90a opt=O3
	.text
	.amdgcn_target "amdgcn-amd-amdhsa--gfx90a"
	.amdhsa_code_object_version 6
	.protected	_Z6kernelPfS_iiiiiffi   ; -- Begin function _Z6kernelPfS_iiiiiffi
	.globl	_Z6kernelPfS_iiiiiffi
	.p2align	8
	.type	_Z6kernelPfS_iiiiiffi,@function
_Z6kernelPfS_iiiiiffi:                  ; @_Z6kernelPfS_iiiiiffi
; %bb.0:
	s_load_dword s0, s[4:5], 0x3c
	s_load_dwordx8 s[8:15], s[4:5], 0x10
	v_and_b32_e32 v1, 0x3ff, v0
	v_bfe_u32 v0, v0, 10, 10
	s_waitcnt lgkmcnt(0)
	s_lshr_b32 s1, s0, 16
	s_and_b32 s0, s0, 0xffff
	s_mul_i32 s0, s6, s0
	s_add_i32 s0, s0, s9
	v_add_u32_e32 v2, s0, v1
	s_mul_i32 s0, s7, s1
	s_add_i32 s0, s0, s8
	v_add_u32_e32 v0, s0, v0
	v_cmp_ge_i32_e32 vcc, s10, v0
	v_cmp_ge_i32_e64 s[0:1], s11, v2
	s_and_b64 s[0:1], s[0:1], vcc
	s_and_saveexec_b64 s[2:3], s[0:1]
	s_cbranch_execz .LBB0_7
; %bb.1:
	v_add_u32_e32 v0, -1, v0
	s_load_dwordx4 s[0:3], s[4:5], 0x0
	v_mad_u64_u32 v[4:5], s[4:5], v0, s12, v[2:3]
	v_add_u32_e32 v3, -1, v4
	v_mul_lo_u32 v0, v3, 12
	v_ashrrev_i32_e32 v1, 31, v0
	v_lshlrev_b64 v[0:1], 2, v[0:1]
	s_waitcnt lgkmcnt(0)
	v_mov_b32_e32 v5, s1
	v_add_co_u32_e32 v0, vcc, s0, v0
	v_addc_co_u32_e32 v1, vcc, v5, v1, vcc
	global_load_dword v5, v[0:1], off
	s_waitcnt vmcnt(0)
	v_cmp_neq_f32_e32 vcc, 0, v5
	s_and_b64 exec, exec, vcc
	s_cbranch_execz .LBB0_7
; %bb.2:
	v_subrev_u32_e32 v3, s12, v3
	v_mul_lo_u32 v10, v3, 12
	v_ashrrev_i32_e32 v11, 31, v10
	v_lshlrev_b64 v[10:11], 2, v[10:11]
	v_mov_b32_e32 v12, s1
	v_add_co_u32_e32 v10, vcc, s0, v10
	v_addc_co_u32_e32 v11, vcc, v12, v11, vcc
	v_ashrrev_i32_e32 v3, 31, v2
	global_load_dword v13, v[10:11], off offset:12
	v_lshlrev_b64 v[2:3], 2, v[2:3]
	v_not_b32_e32 v10, 19
	v_mov_b32_e32 v5, s3
	v_add_co_u32_e32 v2, vcc, s2, v2
	v_mov_b32_e32 v11, -1
	v_addc_co_u32_e32 v3, vcc, v5, v3, vcc
	v_mad_u64_u32 v[4:5], s[2:3], v4, 12, v[10:11]
	v_ashrrev_i32_e32 v5, 31, v4
	global_load_dwordx4 v[6:9], v[0:1], off offset:4
	v_lshlrev_b64 v[4:5], 2, v[4:5]
	global_load_dwordx2 v[2:3], v[2:3], off offset:-4
	v_add_co_u32_e32 v4, vcc, s0, v4
	v_addc_co_u32_e32 v5, vcc, v12, v5, vcc
	global_load_dword v10, v[4:5], off
	global_load_dword v11, v[0:1], off offset:20
	s_waitcnt vmcnt(3)
	v_sub_f32_e32 v4, v8, v13
	s_waitcnt vmcnt(2)
	v_fmac_f32_e32 v4, v9, v3
	s_waitcnt vmcnt(1)
	v_fma_f32 v2, -v10, v2, v4
	s_waitcnt vmcnt(0)
	v_fma_f32 v2, -v11, v2, v6
	v_cmp_nlt_f32_e64 vcc, |v2|, s13
	v_cndmask_b32_e32 v3, 0, v2, vcc
	v_cmp_gt_f32_e32 vcc, v3, v7
	global_store_dword v[0:1], v3, off offset:4
	s_and_saveexec_b64 s[0:1], vcc
	s_cbranch_execz .LBB0_4
; %bb.3:
	global_store_dword v[0:1], v3, off offset:8
.LBB0_4:
	s_or_b64 exec, exec, s[0:1]
	v_cmp_eq_f32_e64 s[0:1], s14, 0
	s_and_b64 vcc, exec, s[0:1]
	s_cbranch_vccnz .LBB0_7
; %bb.5:
	global_load_dword v3, v[0:1], off offset:40
	v_cmp_gt_f32_e64 s[0:1], |v2|, s14
	s_waitcnt vmcnt(0)
	v_cmp_gt_f32_e32 vcc, 0, v3
	s_and_b64 s[0:1], s[0:1], vcc
	s_and_b64 exec, exec, s[0:1]
	s_cbranch_execz .LBB0_7
; %bb.6:
	v_cvt_f32_i32_e32 v2, s15
	global_store_dword v[0:1], v2, off offset:40
.LBB0_7:
	s_endpgm
	.section	.rodata,"a",@progbits
	.p2align	6, 0x0
	.amdhsa_kernel _Z6kernelPfS_iiiiiffi
		.amdhsa_group_segment_fixed_size 0
		.amdhsa_private_segment_fixed_size 0
		.amdhsa_kernarg_size 304
		.amdhsa_user_sgpr_count 6
		.amdhsa_user_sgpr_private_segment_buffer 1
		.amdhsa_user_sgpr_dispatch_ptr 0
		.amdhsa_user_sgpr_queue_ptr 0
		.amdhsa_user_sgpr_kernarg_segment_ptr 1
		.amdhsa_user_sgpr_dispatch_id 0
		.amdhsa_user_sgpr_flat_scratch_init 0
		.amdhsa_user_sgpr_kernarg_preload_length 0
		.amdhsa_user_sgpr_kernarg_preload_offset 0
		.amdhsa_user_sgpr_private_segment_size 0
		.amdhsa_uses_dynamic_stack 0
		.amdhsa_system_sgpr_private_segment_wavefront_offset 0
		.amdhsa_system_sgpr_workgroup_id_x 1
		.amdhsa_system_sgpr_workgroup_id_y 1
		.amdhsa_system_sgpr_workgroup_id_z 0
		.amdhsa_system_sgpr_workgroup_info 0
		.amdhsa_system_vgpr_workitem_id 1
		.amdhsa_next_free_vgpr 14
		.amdhsa_next_free_sgpr 16
		.amdhsa_accum_offset 16
		.amdhsa_reserve_vcc 1
		.amdhsa_reserve_flat_scratch 0
		.amdhsa_float_round_mode_32 0
		.amdhsa_float_round_mode_16_64 0
		.amdhsa_float_denorm_mode_32 3
		.amdhsa_float_denorm_mode_16_64 3
		.amdhsa_dx10_clamp 1
		.amdhsa_ieee_mode 1
		.amdhsa_fp16_overflow 0
		.amdhsa_tg_split 0
		.amdhsa_exception_fp_ieee_invalid_op 0
		.amdhsa_exception_fp_denorm_src 0
		.amdhsa_exception_fp_ieee_div_zero 0
		.amdhsa_exception_fp_ieee_overflow 0
		.amdhsa_exception_fp_ieee_underflow 0
		.amdhsa_exception_fp_ieee_inexact 0
		.amdhsa_exception_int_div_zero 0
	.end_amdhsa_kernel
	.text
.Lfunc_end0:
	.size	_Z6kernelPfS_iiiiiffi, .Lfunc_end0-_Z6kernelPfS_iiiiiffi
                                        ; -- End function
	.section	.AMDGPU.csdata,"",@progbits
; Kernel info:
; codeLenInByte = 468
; NumSgprs: 20
; NumVgprs: 14
; NumAgprs: 0
; TotalNumVgprs: 14
; ScratchSize: 0
; MemoryBound: 0
; FloatMode: 240
; IeeeMode: 1
; LDSByteSize: 0 bytes/workgroup (compile time only)
; SGPRBlocks: 2
; VGPRBlocks: 1
; NumSGPRsForWavesPerEU: 20
; NumVGPRsForWavesPerEU: 14
; AccumOffset: 16
; Occupancy: 8
; WaveLimiterHint : 0
; COMPUTE_PGM_RSRC2:SCRATCH_EN: 0
; COMPUTE_PGM_RSRC2:USER_SGPR: 6
; COMPUTE_PGM_RSRC2:TRAP_HANDLER: 0
; COMPUTE_PGM_RSRC2:TGID_X_EN: 1
; COMPUTE_PGM_RSRC2:TGID_Y_EN: 1
; COMPUTE_PGM_RSRC2:TGID_Z_EN: 0
; COMPUTE_PGM_RSRC2:TIDIG_COMP_CNT: 1
; COMPUTE_PGM_RSRC3_GFX90A:ACCUM_OFFSET: 3
; COMPUTE_PGM_RSRC3_GFX90A:TG_SPLIT: 0
	.text
	.protected	_Z7kernel2PfPKfS1_S1_S1_iiiiii ; -- Begin function _Z7kernel2PfPKfS1_S1_S1_iiiiii
	.globl	_Z7kernel2PfPKfS1_S1_S1_iiiiii
	.p2align	8
	.type	_Z7kernel2PfPKfS1_S1_S1_iiiiii,@function
_Z7kernel2PfPKfS1_S1_S1_iiiiii:         ; @_Z7kernel2PfPKfS1_S1_S1_iiiiii
; %bb.0:
	s_load_dwordx4 s[16:19], s[4:5], 0x28
	s_load_dwordx2 s[22:23], s[4:5], 0x20
	s_load_dwordx2 s[6:7], s[4:5], 0x38
	s_load_dwordx8 s[8:15], s[4:5], 0x0
	s_waitcnt lgkmcnt(0)
	s_cmp_lt_i32 s17, 3
	s_cselect_b64 s[20:21], -1, 0
	s_cmp_gt_i32 s17, 2
	s_mul_i32 s33, s6, 12
	s_cbranch_scc1 .LBB1_4
; %bb.1:
	s_cmp_lt_i32 s7, 3
	s_cbranch_scc1 .LBB1_4
; %bb.2:
	s_add_u32 s34, s8, 12
	s_addc_u32 s35, s9, 0
	s_add_i32 s36, s7, -2
	s_add_u32 s4, s10, 8
	s_addc_u32 s5, s11, 0
	s_mov_b32 s24, 0
	v_mov_b32_e32 v2, 0
	s_mov_b32 s37, 0x3f2aaaab
	v_mov_b32_e32 v3, 0x3ecccdef
	s_mov_b32 s38, 0x3f317218
	s_movk_i32 s39, 0x204
	s_mov_b32 s40, 0x7f800000
	s_mov_b32 s41, 0x42b17218
	v_mov_b32_e32 v4, 0x37000000
	s_mov_b32 s42, 0x3fb8aa3b
	s_mov_b32 s43, 0xc2ce8ed0
	v_mov_b32_e32 v5, 0x7f800000
	s_brev_b32 s44, -2
	v_mov_b32_e32 v6, 0x7fc00000
	s_mov_b32 s45, 0xf800000
	v_mov_b32_e32 v7, 0x260
.LBB1_3:                                ; =>This Inner Loop Header: Depth=1
	s_add_i32 s0, s33, s24
	s_ashr_i32 s1, s0, 31
	s_lshl_b64 s[2:3], s[0:1], 2
	s_add_u32 s26, s8, s2
	s_addc_u32 s27, s9, s3
	global_load_dwordx2 v[0:1], v2, s[26:27] offset:12
	global_load_dword v10, v2, s[4:5]
	s_ashr_i32 s25, s24, 31
	s_lshl_b64 s[28:29], s[24:25], 2
	s_mov_b32 s24, s0
	v_mov_b32_e32 v8, 0x3e91f4c4
	v_mov_b32_e32 v9, 0x3e91f4c4
	s_waitcnt vmcnt(1)
	v_frexp_mant_f32_e64 v11, |v1|
	v_cmp_gt_f32_e64 s[0:1], s37, v11
	v_cmp_eq_f32_e32 vcc, 1.0, v1
	v_cndmask_b32_e64 v15, 1.0, 2.0, s[0:1]
	v_cndmask_b32_e64 v26, 2.0, 1.0, vcc
	v_cvt_f64_f32_e64 v[12:13], |v1|
	v_mul_f32_e32 v11, v11, v15
	v_frexp_exp_i32_f64_e32 v12, v[12:13]
	v_mul_f32_e32 v16, 0.5, v26
	v_add_f32_e32 v17, 1.0, v11
	v_trunc_f32_e32 v13, v26
	v_subbrev_co_u32_e64 v12, s[0:1], 0, v12, s[0:1]
	v_trunc_f32_e32 v15, v16
	v_rcp_f32_e32 v22, v17
	v_cmp_eq_f32_e64 s[0:1], v13, v26
	v_cmp_neq_f32_e64 s[2:3], v15, v16
	v_cmp_eq_f32_e32 vcc, 0, v1
	v_cvt_f32_i32_e32 v12, v12
	v_add_f32_e32 v15, -1.0, v17
	s_and_b64 s[2:3], s[0:1], s[2:3]
	v_cndmask_b32_e64 v14, v5, 0, vcc
	v_add_f32_e32 v13, -1.0, v11
	v_sub_f32_e32 v11, v11, v15
	v_cndmask_b32_e64 v15, 0, v1, s[2:3]
	v_bfi_b32 v28, s44, v14, v15
	v_mul_f32_e32 v15, v13, v22
	v_mul_f32_e32 v18, v17, v15
	;; [unrolled: 1-line block ×3, first 2 shown]
	v_fma_f32 v20, v15, v17, -v18
	v_fma_f32 v16, v12, s38, -v14
	v_fmac_f32_e32 v20, v15, v11
	v_fmac_f32_e32 v16, 0xb102e308, v12
	v_add_f32_e32 v12, v18, v20
	v_sub_f32_e32 v19, v13, v12
	v_mov_b32_e32 v21, v12
	v_pk_add_f32 v[12:13], v[12:13], v[18:19] neg_lo:[0,1] neg_hi:[0,1]
	v_pk_add_f32 v[12:13], v[12:13], v[20:21] neg_lo:[0,1] neg_hi:[0,1]
	v_add_f32_e32 v11, v12, v13
	v_add_f32_e32 v11, v19, v11
	v_mul_f32_e32 v11, v22, v11
	v_add_f32_e32 v12, v15, v11
	v_sub_f32_e32 v13, v12, v15
	v_mul_f32_e32 v15, v12, v12
	v_sub_f32_e32 v11, v11, v13
	v_fma_f32 v13, v12, v12, -v15
	v_add_f32_e32 v18, v11, v11
	v_fmac_f32_e32 v13, v12, v18
	v_add_f32_e32 v18, v15, v13
	v_fmac_f32_e32 v8, 0x3e76c4e1, v18
	v_sub_f32_e32 v15, v18, v15
	v_fma_f32 v8, v18, v8, v3
	v_sub_f32_e32 v15, v13, v15
	v_mul_f32_e32 v13, v18, v8
	v_fma_f32 v19, v18, v8, -v13
	v_fmac_f32_e32 v19, v15, v8
	v_add_f32_e32 v8, v13, v19
	v_add_f32_e32 v21, 0x3f2aaaaa, v8
	v_sub_f32_e32 v13, v8, v13
	v_sub_f32_e32 v13, v19, v13
	v_add_f32_e32 v19, 0xbf2aaaaa, v21
	v_add_f32_e32 v13, 0x31739010, v13
	v_sub_f32_e32 v19, v8, v19
	v_pk_mul_f32 v[22:23], v[12:13], v[18:19]
	v_fma_f32 v20, v18, v12, -v22
	v_pk_add_f32 v[24:25], v[12:13], v[18:19]
	v_fmac_f32_e32 v20, v18, v11
	v_mov_b32_e32 v23, v25
	v_fmac_f32_e32 v20, v15, v12
	v_ldexp_f32 v17, v12, 1
	v_pk_add_f32 v[12:13], v[22:23], v[20:21]
	v_mov_b32_e32 v8, v13
	v_ldexp_f32 v29, v11, 1
	v_sub_f32_e32 v11, v12, v22
	v_sub_f32_e32 v15, v21, v13
	v_pk_mul_f32 v[18:19], v[12:13], v[8:9]
	v_sub_f32_e32 v11, v20, v11
	v_add_f32_e32 v15, v25, v15
	v_fma_f32 v20, v12, v13, -v18
	v_fmac_f32_e32 v20, v12, v15
	v_fmac_f32_e32 v20, v11, v13
	v_add_f32_e32 v15, v18, v20
	v_pk_add_f32 v[12:13], v[14:15], v[16:17]
	v_mov_b32_e32 v19, v17
	v_mov_b32_e32 v22, v15
	v_mov_b32_e32 v23, v13
	v_mov_b32_e32 v21, v15
	v_pk_add_f32 v[18:19], v[22:23], v[18:19] neg_lo:[0,1] neg_hi:[0,1]
	v_pk_add_f32 v[18:19], v[20:21], v[18:19] neg_lo:[0,1] neg_hi:[0,1]
	v_add_f32_e32 v8, v29, v18
	v_add_f32_e32 v15, v8, v19
	v_pk_add_f32 v[18:19], v[12:13], v[14:15] neg_lo:[0,1] neg_hi:[0,1]
	v_pk_add_f32 v[20:21], v[12:13], v[14:15]
	v_mov_b32_e32 v17, v12
	v_mov_b32_e32 v22, v18
	;; [unrolled: 1-line block ×3, first 2 shown]
	v_pk_add_f32 v[22:23], v[16:17], v[22:23]
	v_mov_b32_e32 v8, v23
	v_mov_b32_e32 v24, v13
	v_pk_add_f32 v[12:13], v[8:9], v[12:13] neg_lo:[0,1] neg_hi:[0,1]
	v_mov_b32_e32 v22, v21
	v_mov_b32_e32 v11, v12
	v_mov_b32_e32 v25, v12
	v_pk_add_f32 v[18:19], v[16:17], v[18:19] neg_lo:[0,1] neg_hi:[0,1]
	v_mov_b32_e32 v16, v15
	s_waitcnt vmcnt(0)
	v_pk_add_f32 v[12:13], v[20:21], v[10:11] neg_lo:[0,1] neg_hi:[0,1]
	v_pk_add_f32 v[14:15], v[22:23], v[24:25] neg_lo:[0,1] neg_hi:[0,1]
	v_pk_add_f32 v[14:15], v[16:17], v[14:15] neg_lo:[0,1] neg_hi:[0,1]
	v_mov_b32_e32 v12, v18
	v_pk_add_f32 v[12:13], v[12:13], v[14:15]
	v_mov_b32_e32 v16, v13
	v_pk_add_f32 v[16:17], v[12:13], v[16:17]
	v_pk_add_f32 v[20:21], v[8:9], v[16:17]
	v_mov_b32_e32 v19, v23
	v_mov_b32_e32 v13, v20
	;; [unrolled: 1-line block ×3, first 2 shown]
	v_pk_add_f32 v[16:17], v[12:13], v[18:19] neg_lo:[0,1] neg_hi:[0,1]
	v_sub_f32_e32 v8, v12, v16
	v_pk_add_f32 v[14:15], v[14:15], v[16:17] neg_lo:[0,1] neg_hi:[0,1]
	v_sub_f32_e32 v8, v18, v8
	v_add_f32_e32 v8, v14, v8
	v_add_f32_e32 v8, v8, v15
	;; [unrolled: 1-line block ×3, first 2 shown]
	v_sub_f32_e32 v12, v11, v20
	v_mul_f32_e32 v13, v26, v11
	v_sub_f32_e32 v8, v8, v12
	v_fma_f32 v11, v26, v11, -v13
	v_fmac_f32_e32 v11, v26, v8
	v_cndmask_b32_e64 v27, 1.0, v1, s[2:3]
	v_add_f32_e32 v8, v13, v11
	v_cmp_class_f32_e64 s[2:3], v13, s39
	v_sub_f32_e32 v12, v8, v13
	v_cndmask_b32_e64 v8, v8, v13, s[2:3]
	v_cmp_eq_f32_e64 s[2:3], s41, v8
	v_sub_f32_e32 v11, v11, v12
	v_cndmask_b32_e64 v12, 0, v4, s[2:3]
	v_cmp_neq_f32_e64 s[2:3], |v8|, s40
	v_cndmask_b32_e64 v11, 0, v11, s[2:3]
	v_sub_f32_e32 v8, v8, v12
	v_add_f32_e32 v11, v12, v11
	v_mul_f32_e32 v12, 0x3fb8aa3b, v8
	v_fma_f32 v13, v8, s42, -v12
	v_rndne_f32_e32 v14, v12
	v_fmac_f32_e32 v13, 0x32a5705f, v8
	v_sub_f32_e32 v12, v12, v14
	v_add_f32_e32 v12, v12, v13
	v_cvt_i32_f32_e32 v14, v14
	v_exp_f32_e32 v12, v12
	v_cmp_ngt_f32_e64 s[2:3], s43, v8
	v_cmp_class_f32_e64 s[30:31], v1, s39
	s_or_b64 vcc, vcc, s[30:31]
	v_ldexp_f32 v12, v12, v14
	v_cndmask_b32_e64 v12, 0, v12, s[2:3]
	v_cmp_nlt_f32_e64 s[2:3], s41, v8
	v_cndmask_b32_e64 v8, v5, v12, s[2:3]
	v_fma_f32 v11, v8, v11, v8
	v_cmp_class_f32_e64 s[2:3], v8, s39
	v_cndmask_b32_e64 v8, v11, v8, s[2:3]
	v_bfi_b32 v8, s44, v8, v27
	v_cndmask_b32_e64 v11, v6, v8, s[0:1]
	v_cmp_gt_f32_e64 s[0:1], 0, v1
	v_cndmask_b32_e64 v8, v8, v11, s[0:1]
	s_add_u32 s0, s34, s28
	v_cndmask_b32_e32 v8, v8, v28, vcc
	v_cmp_o_f32_e32 vcc, v1, v1
	s_addc_u32 s1, s35, s29
	v_cndmask_b32_e32 v11, v6, v8, vcc
	global_load_dword v8, v2, s[0:1]
	s_add_i32 s36, s36, -1
	s_waitcnt vmcnt(0)
	v_add_f32_e32 v24, v0, v8
	v_frexp_mant_f32_e64 v0, |v24|
	v_cmp_eq_f32_e32 vcc, 1.0, v24
	v_cmp_gt_f32_e64 s[0:1], s37, v0
	v_cndmask_b32_e64 v25, 2.0, 1.0, vcc
	v_cndmask_b32_e64 v14, 1.0, 2.0, s[0:1]
	v_mul_f32_e32 v15, 0.5, v25
	v_mul_f32_e32 v0, v0, v14
	v_cvt_f64_f32_e64 v[12:13], |v24|
	v_trunc_f32_e32 v14, v15
	v_add_f32_e32 v17, 1.0, v0
	v_frexp_exp_i32_f64_e32 v12, v[12:13]
	v_cmp_neq_f32_e64 s[2:3], v14, v15
	v_rcp_f32_e32 v15, v17
	v_subbrev_co_u32_e64 v12, s[0:1], 0, v12, s[0:1]
	v_trunc_f32_e32 v13, v25
	v_cvt_f32_i32_e32 v12, v12
	v_cmp_eq_f32_e64 s[0:1], v13, v25
	v_add_f32_e32 v13, -1.0, v0
	v_cmp_eq_f32_e32 vcc, 0, v24
	v_add_f32_e32 v14, -1.0, v17
	s_and_b64 s[2:3], s[0:1], s[2:3]
	v_mul_f32_e32 v20, v13, v15
	v_cndmask_b32_e64 v8, v5, 0, vcc
	v_sub_f32_e32 v0, v0, v14
	v_cndmask_b32_e64 v14, 0, v24, s[2:3]
	v_mul_f32_e32 v16, v17, v20
	v_bfi_b32 v27, s44, v8, v14
	v_mul_f32_e32 v8, 0x3f317218, v12
	v_fma_f32 v18, v20, v17, -v16
	v_fma_f32 v14, v12, s38, -v8
	v_fmac_f32_e32 v18, v20, v0
	v_fmac_f32_e32 v14, 0xb102e308, v12
	v_add_f32_e32 v12, v16, v18
	v_sub_f32_e32 v17, v13, v12
	v_mov_b32_e32 v19, v12
	v_pk_add_f32 v[12:13], v[12:13], v[16:17] neg_lo:[0,1] neg_hi:[0,1]
	v_pk_add_f32 v[12:13], v[12:13], v[18:19] neg_lo:[0,1] neg_hi:[0,1]
	v_add_f32_e32 v0, v12, v13
	v_add_f32_e32 v0, v17, v0
	v_mul_f32_e32 v0, v15, v0
	v_add_f32_e32 v12, v20, v0
	v_sub_f32_e32 v13, v12, v20
	v_mul_f32_e32 v17, v12, v12
	v_sub_f32_e32 v0, v0, v13
	v_fma_f32 v13, v12, v12, -v17
	v_add_f32_e32 v16, v0, v0
	v_fmac_f32_e32 v13, v12, v16
	v_add_f32_e32 v16, v17, v13
	v_fmac_f32_e32 v9, 0x3e76c4e1, v16
	v_sub_f32_e32 v17, v16, v17
	v_fma_f32 v9, v16, v9, v3
	v_sub_f32_e32 v29, v13, v17
	v_mul_f32_e32 v13, v16, v9
	v_fma_f32 v17, v16, v9, -v13
	v_fmac_f32_e32 v17, v29, v9
	v_add_f32_e32 v9, v13, v17
	v_add_f32_e32 v19, 0x3f2aaaaa, v9
	v_sub_f32_e32 v13, v9, v13
	v_sub_f32_e32 v13, v17, v13
	v_add_f32_e32 v17, 0xbf2aaaaa, v19
	v_add_f32_e32 v13, 0x31739010, v13
	v_sub_f32_e32 v17, v9, v17
	v_pk_mul_f32 v[20:21], v[12:13], v[16:17]
	v_fma_f32 v18, v16, v12, -v20
	v_pk_add_f32 v[22:23], v[12:13], v[16:17]
	v_fmac_f32_e32 v18, v16, v0
	v_mov_b32_e32 v21, v23
	v_fmac_f32_e32 v18, v29, v12
	v_ldexp_f32 v15, v12, 1
	v_pk_add_f32 v[12:13], v[20:21], v[18:19]
	v_ldexp_f32 v28, v0, 1
	v_sub_f32_e32 v16, v19, v13
	v_mov_b32_e32 v0, v13
	v_sub_f32_e32 v9, v12, v20
	v_add_f32_e32 v19, v23, v16
	v_pk_mul_f32 v[16:17], v[12:13], v[0:1]
	v_sub_f32_e32 v9, v18, v9
	v_fma_f32 v18, v12, v13, -v16
	v_fmac_f32_e32 v18, v12, v19
	v_fmac_f32_e32 v18, v9, v13
	v_add_f32_e32 v9, v16, v18
	v_pk_add_f32 v[12:13], v[8:9], v[14:15]
	v_mov_b32_e32 v17, v15
	v_mov_b32_e32 v20, v9
	;; [unrolled: 1-line block ×4, first 2 shown]
	v_pk_add_f32 v[16:17], v[20:21], v[16:17] neg_lo:[0,1] neg_hi:[0,1]
	v_pk_add_f32 v[16:17], v[18:19], v[16:17] neg_lo:[0,1] neg_hi:[0,1]
	v_add_f32_e32 v0, v28, v16
	v_add_f32_e32 v9, v0, v17
	v_pk_add_f32 v[16:17], v[12:13], v[8:9] neg_lo:[0,1] neg_hi:[0,1]
	v_pk_add_f32 v[18:19], v[12:13], v[8:9]
	v_mov_b32_e32 v15, v12
	v_mov_b32_e32 v20, v16
	;; [unrolled: 1-line block ×3, first 2 shown]
	v_pk_add_f32 v[20:21], v[14:15], v[20:21]
	v_mov_b32_e32 v0, v21
	v_pk_add_f32 v[16:17], v[14:15], v[16:17] neg_lo:[0,1] neg_hi:[0,1]
	v_mov_b32_e32 v14, v9
	v_pk_add_f32 v[8:9], v[0:1], v[12:13] neg_lo:[0,1] neg_hi:[0,1]
	v_mov_b32_e32 v22, v13
	v_mov_b32_e32 v20, v19
	;; [unrolled: 1-line block ×4, first 2 shown]
	v_pk_add_f32 v[8:9], v[18:19], v[8:9] neg_lo:[0,1] neg_hi:[0,1]
	v_pk_add_f32 v[12:13], v[20:21], v[22:23] neg_lo:[0,1] neg_hi:[0,1]
	;; [unrolled: 1-line block ×3, first 2 shown]
	v_mov_b32_e32 v8, v16
	v_pk_add_f32 v[8:9], v[8:9], v[12:13]
	v_mov_b32_e32 v14, v9
	v_pk_add_f32 v[14:15], v[8:9], v[14:15]
	v_pk_add_f32 v[18:19], v[0:1], v[14:15]
	v_mov_b32_e32 v17, v21
	v_mov_b32_e32 v9, v18
	;; [unrolled: 1-line block ×3, first 2 shown]
	v_pk_add_f32 v[14:15], v[8:9], v[16:17] neg_lo:[0,1] neg_hi:[0,1]
	v_sub_f32_e32 v0, v8, v14
	v_pk_add_f32 v[12:13], v[12:13], v[14:15] neg_lo:[0,1] neg_hi:[0,1]
	v_sub_f32_e32 v0, v16, v0
	v_add_f32_e32 v0, v12, v0
	v_add_f32_e32 v0, v0, v13
	;; [unrolled: 1-line block ×3, first 2 shown]
	v_sub_f32_e32 v9, v8, v18
	v_mul_f32_e32 v12, v25, v8
	v_sub_f32_e32 v0, v0, v9
	v_fma_f32 v8, v25, v8, -v12
	v_fmac_f32_e32 v8, v25, v0
	v_cndmask_b32_e64 v26, 1.0, v24, s[2:3]
	v_add_f32_e32 v0, v12, v8
	v_cmp_class_f32_e64 s[2:3], v12, s39
	v_sub_f32_e32 v9, v0, v12
	v_cndmask_b32_e64 v0, v0, v12, s[2:3]
	v_cmp_eq_f32_e64 s[2:3], s41, v0
	v_sub_f32_e32 v8, v8, v9
	v_cndmask_b32_e64 v9, 0, v4, s[2:3]
	v_cmp_neq_f32_e64 s[2:3], |v0|, s40
	v_cndmask_b32_e64 v8, 0, v8, s[2:3]
	v_sub_f32_e32 v0, v0, v9
	v_add_f32_e32 v8, v9, v8
	v_mul_f32_e32 v9, 0x3fb8aa3b, v0
	v_fma_f32 v12, v0, s42, -v9
	v_rndne_f32_e32 v13, v9
	v_fmac_f32_e32 v12, 0x32a5705f, v0
	v_sub_f32_e32 v9, v9, v13
	v_add_f32_e32 v9, v9, v12
	v_cvt_i32_f32_e32 v13, v13
	v_exp_f32_e32 v9, v9
	v_cmp_ngt_f32_e64 s[2:3], s43, v0
	v_cmp_class_f32_e64 s[28:29], v24, s39
	s_or_b64 vcc, vcc, s[28:29]
	v_ldexp_f32 v9, v9, v13
	v_cndmask_b32_e64 v9, 0, v9, s[2:3]
	v_cmp_nlt_f32_e64 s[2:3], s41, v0
	v_cndmask_b32_e64 v0, v5, v9, s[2:3]
	v_fma_f32 v8, v0, v8, v0
	v_cmp_class_f32_e64 s[2:3], v0, s39
	v_cndmask_b32_e64 v0, v8, v0, s[2:3]
	v_bfi_b32 v0, s44, v0, v26
	v_cndmask_b32_e64 v8, v6, v0, s[0:1]
	v_cmp_gt_f32_e64 s[0:1], 0, v24
	v_cndmask_b32_e64 v0, v0, v8, s[0:1]
	v_cndmask_b32_e32 v0, v0, v27, vcc
	v_mul_f32_e32 v0, 0x3e800000, v0
	v_cmp_o_f32_e32 vcc, v24, v24
	v_cndmask_b32_e32 v0, v6, v0, vcc
	v_add_f32_e32 v0, v11, v0
	v_mul_f32_e32 v8, 0x4f800000, v0
	v_cmp_gt_f32_e32 vcc, s45, v0
	v_cndmask_b32_e32 v0, v0, v8, vcc
	v_sqrt_f32_e32 v8, v0
	s_add_u32 s4, s4, 4
	s_addc_u32 s5, s5, 0
	s_cmp_lg_u32 s36, 0
	v_add_u32_e32 v9, -1, v8
	v_add_u32_e32 v11, 1, v8
	v_fma_f32 v12, -v9, v8, v0
	v_fma_f32 v13, -v11, v8, v0
	v_cmp_ge_f32_e64 s[0:1], 0, v12
	v_cndmask_b32_e64 v8, v8, v9, s[0:1]
	v_cmp_lt_f32_e64 s[0:1], 0, v13
	v_cndmask_b32_e64 v8, v8, v11, s[0:1]
	v_mul_f32_e32 v9, 0x37800000, v8
	v_cndmask_b32_e32 v8, v8, v9, vcc
	v_cmp_class_f32_e32 vcc, v0, v7
	v_cndmask_b32_e32 v0, v8, v0, vcc
	v_mul_f32_e32 v0, v10, v0
	v_cmp_lt_f32_e32 vcc, 0, v1
	v_cndmask_b32_e64 v0, v0, -v0, vcc
	global_store_dword v2, v0, s[26:27] offset:4
	s_cbranch_scc1 .LBB1_3
.LBB1_4:
	s_cmp_gt_i32 s16, 2
	s_cbranch_scc1 .LBB1_10
; %bb.5:
	s_cmp_lt_i32 s6, 3
	s_cbranch_scc1 .LBB1_10
; %bb.6:
	s_add_i32 s16, s6, -2
	s_add_u32 s4, s12, 8
	s_addc_u32 s5, s13, 0
	s_mov_b32 s12, 13
	v_mov_b32_e32 v2, 0
	s_mov_b32 s30, 0x3f2aaaab
	v_mov_b32_e32 v3, 0x3ecccdef
	s_mov_b32 s31, 0x3f317218
	s_movk_i32 s34, 0x204
	s_mov_b32 s35, 0x7f800000
	s_mov_b32 s36, 0x42b17218
	v_mov_b32_e32 v4, 0x37000000
	s_mov_b32 s37, 0x3fb8aa3b
	s_mov_b32 s38, 0xc2ce8ed0
	v_mov_b32_e32 v5, 0x7f800000
	s_brev_b32 s39, -2
	v_mov_b32_e32 v6, 0x7fc00000
	s_mov_b32 s40, 0xf800000
	v_mov_b32_e32 v7, 0x260
	s_branch .LBB1_8
.LBB1_7:                                ;   in Loop: Header=BB1_8 Depth=1
	s_add_i32 s16, s16, -1
	s_add_i32 s12, s12, 12
	s_add_u32 s4, s4, 4
	s_addc_u32 s5, s5, 0
	s_cmp_lg_u32 s16, 0
	s_cbranch_scc0 .LBB1_10
.LBB1_8:                                ; =>This Inner Loop Header: Depth=1
	s_add_i32 s0, s12, -1
	s_ashr_i32 s1, s0, 31
	s_lshl_b64 s[0:1], s[0:1], 2
	s_add_u32 s24, s8, s0
	s_addc_u32 s25, s9, s1
	global_load_dwordx2 v[0:1], v2, s[24:25] offset:12
	global_load_dword v9, v2, s[4:5]
	s_add_i32 s0, s12, -9
	s_ashr_i32 s1, s0, 31
	s_lshl_b64 s[26:27], s[0:1], 2
	v_mov_b32_e32 v8, 0x3e91f4c4
	s_waitcnt vmcnt(1)
	v_frexp_mant_f32_e64 v12, |v0|
	v_cmp_eq_f32_e32 vcc, 1.0, v0
	v_cmp_gt_f32_e64 s[0:1], s30, v12
	v_cndmask_b32_e64 v24, 2.0, 1.0, vcc
	v_cndmask_b32_e64 v14, 1.0, 2.0, s[0:1]
	v_cvt_f64_f32_e64 v[10:11], |v0|
	v_mul_f32_e32 v15, 0.5, v24
	v_mul_f32_e32 v12, v12, v14
	v_frexp_exp_i32_f64_e32 v10, v[10:11]
	v_trunc_f32_e32 v14, v15
	v_add_f32_e32 v17, 1.0, v12
	v_trunc_f32_e32 v11, v24
	v_subbrev_co_u32_e64 v10, s[0:1], 0, v10, s[0:1]
	v_cmp_neq_f32_e64 s[2:3], v14, v15
	v_rcp_f32_e32 v15, v17
	v_cmp_eq_f32_e64 s[0:1], v11, v24
	v_cmp_eq_f32_e32 vcc, 0, v0
	v_cvt_f32_i32_e32 v10, v10
	v_add_f32_e32 v14, -1.0, v17
	s_and_b64 s[2:3], s[0:1], s[2:3]
	v_cndmask_b32_e64 v13, v5, 0, vcc
	v_add_f32_e32 v11, -1.0, v12
	v_sub_f32_e32 v19, v12, v14
	v_cndmask_b32_e64 v12, 0, v0, s[2:3]
	v_bfi_b32 v26, s39, v13, v12
	v_mul_f32_e32 v13, v11, v15
	v_mul_f32_e32 v16, v17, v13
	;; [unrolled: 1-line block ×3, first 2 shown]
	v_fma_f32 v18, v13, v17, -v16
	v_fma_f32 v14, v10, s31, -v12
	v_fmac_f32_e32 v18, v13, v19
	v_fmac_f32_e32 v14, 0xb102e308, v10
	v_add_f32_e32 v10, v16, v18
	v_sub_f32_e32 v17, v11, v10
	v_mov_b32_e32 v19, v10
	v_pk_add_f32 v[10:11], v[10:11], v[16:17] neg_lo:[0,1] neg_hi:[0,1]
	v_pk_add_f32 v[10:11], v[10:11], v[18:19] neg_lo:[0,1] neg_hi:[0,1]
	v_add_f32_e32 v10, v10, v11
	v_add_f32_e32 v10, v17, v10
	v_mul_f32_e32 v11, v15, v10
	v_add_f32_e32 v10, v13, v11
	v_sub_f32_e32 v13, v10, v13
	v_mul_f32_e32 v17, v10, v10
	v_sub_f32_e32 v13, v11, v13
	v_fma_f32 v11, v10, v10, -v17
	v_add_f32_e32 v16, v13, v13
	v_fmac_f32_e32 v11, v10, v16
	v_add_f32_e32 v16, v17, v11
	v_fmac_f32_e32 v8, 0x3e76c4e1, v16
	v_sub_f32_e32 v17, v16, v17
	v_fma_f32 v8, v16, v8, v3
	v_sub_f32_e32 v28, v11, v17
	v_mul_f32_e32 v11, v16, v8
	v_fma_f32 v17, v16, v8, -v11
	v_fmac_f32_e32 v17, v28, v8
	v_add_f32_e32 v8, v11, v17
	v_add_f32_e32 v19, 0x3f2aaaaa, v8
	v_sub_f32_e32 v11, v8, v11
	v_sub_f32_e32 v11, v17, v11
	v_add_f32_e32 v17, 0xbf2aaaaa, v19
	v_add_f32_e32 v11, 0x31739010, v11
	v_sub_f32_e32 v17, v8, v17
	v_pk_mul_f32 v[20:21], v[10:11], v[16:17]
	v_fma_f32 v18, v16, v10, -v20
	v_pk_add_f32 v[22:23], v[10:11], v[16:17]
	v_fmac_f32_e32 v18, v16, v13
	v_mov_b32_e32 v21, v23
	v_fmac_f32_e32 v18, v28, v10
	v_ldexp_f32 v15, v10, 1
	v_pk_add_f32 v[10:11], v[20:21], v[18:19]
	v_sub_f32_e32 v16, v19, v11
	v_mov_b32_e32 v8, v11
	v_ldexp_f32 v27, v13, 1
	v_sub_f32_e32 v13, v10, v20
	v_add_f32_e32 v19, v23, v16
	s_waitcnt vmcnt(0)
	v_pk_mul_f32 v[16:17], v[10:11], v[8:9]
	v_sub_f32_e32 v13, v18, v13
	v_fma_f32 v18, v10, v11, -v16
	v_fmac_f32_e32 v18, v10, v19
	v_fmac_f32_e32 v18, v13, v11
	v_add_f32_e32 v13, v16, v18
	v_pk_add_f32 v[10:11], v[12:13], v[14:15]
	v_mov_b32_e32 v17, v15
	v_mov_b32_e32 v20, v13
	v_mov_b32_e32 v21, v11
	v_mov_b32_e32 v19, v13
	v_pk_add_f32 v[16:17], v[20:21], v[16:17] neg_lo:[0,1] neg_hi:[0,1]
	v_pk_add_f32 v[16:17], v[18:19], v[16:17] neg_lo:[0,1] neg_hi:[0,1]
	v_add_f32_e32 v8, v27, v16
	v_add_f32_e32 v13, v8, v17
	v_pk_add_f32 v[16:17], v[10:11], v[12:13] neg_lo:[0,1] neg_hi:[0,1]
	v_pk_add_f32 v[18:19], v[10:11], v[12:13]
	v_mov_b32_e32 v15, v10
	v_mov_b32_e32 v20, v16
	;; [unrolled: 1-line block ×3, first 2 shown]
	v_pk_add_f32 v[20:21], v[14:15], v[20:21]
	v_mov_b32_e32 v8, v21
	v_mov_b32_e32 v22, v11
	v_pk_add_f32 v[10:11], v[8:9], v[10:11] neg_lo:[0,1] neg_hi:[0,1]
	v_mov_b32_e32 v20, v19
	v_mov_b32_e32 v11, v10
	;; [unrolled: 1-line block ×3, first 2 shown]
	v_pk_add_f32 v[16:17], v[14:15], v[16:17] neg_lo:[0,1] neg_hi:[0,1]
	v_mov_b32_e32 v14, v13
	v_pk_add_f32 v[10:11], v[18:19], v[10:11] neg_lo:[0,1] neg_hi:[0,1]
	v_pk_add_f32 v[12:13], v[20:21], v[22:23] neg_lo:[0,1] neg_hi:[0,1]
	;; [unrolled: 1-line block ×3, first 2 shown]
	v_mov_b32_e32 v10, v16
	v_pk_add_f32 v[10:11], v[10:11], v[12:13]
	v_mov_b32_e32 v14, v11
	v_pk_add_f32 v[14:15], v[10:11], v[14:15]
	v_pk_add_f32 v[18:19], v[8:9], v[14:15]
	v_mov_b32_e32 v17, v21
	v_mov_b32_e32 v11, v18
	;; [unrolled: 1-line block ×3, first 2 shown]
	v_pk_add_f32 v[14:15], v[10:11], v[16:17] neg_lo:[0,1] neg_hi:[0,1]
	v_sub_f32_e32 v8, v10, v14
	v_pk_add_f32 v[12:13], v[12:13], v[14:15] neg_lo:[0,1] neg_hi:[0,1]
	v_sub_f32_e32 v8, v16, v8
	v_add_f32_e32 v8, v12, v8
	v_add_f32_e32 v8, v8, v13
	;; [unrolled: 1-line block ×3, first 2 shown]
	v_sub_f32_e32 v11, v10, v18
	v_mul_f32_e32 v12, v24, v10
	v_sub_f32_e32 v8, v8, v11
	v_fma_f32 v10, v24, v10, -v12
	v_fmac_f32_e32 v10, v24, v8
	v_cndmask_b32_e64 v25, 1.0, v0, s[2:3]
	v_add_f32_e32 v8, v12, v10
	v_cmp_class_f32_e64 s[2:3], v12, s34
	v_sub_f32_e32 v11, v8, v12
	v_cndmask_b32_e64 v8, v8, v12, s[2:3]
	v_cmp_eq_f32_e64 s[2:3], s36, v8
	v_sub_f32_e32 v10, v10, v11
	v_cndmask_b32_e64 v11, 0, v4, s[2:3]
	v_sub_f32_e32 v12, v8, v11
	v_mul_f32_e32 v13, 0x3fb8aa3b, v12
	v_fma_f32 v14, v12, s37, -v13
	v_rndne_f32_e32 v15, v13
	v_fmac_f32_e32 v14, 0x32a5705f, v12
	v_sub_f32_e32 v13, v13, v15
	v_add_f32_e32 v13, v13, v14
	v_cvt_i32_f32_e32 v15, v15
	v_exp_f32_e32 v13, v13
	v_cmp_neq_f32_e64 s[2:3], |v8|, s35
	v_cndmask_b32_e64 v8, 0, v10, s[2:3]
	v_cmp_ngt_f32_e64 s[2:3], s38, v12
	v_ldexp_f32 v10, v13, v15
	v_cndmask_b32_e64 v10, 0, v10, s[2:3]
	v_cmp_nlt_f32_e64 s[2:3], s36, v12
	v_add_f32_e32 v8, v11, v8
	v_cndmask_b32_e64 v10, v5, v10, s[2:3]
	v_fma_f32 v8, v10, v8, v10
	v_cmp_class_f32_e64 s[2:3], v10, s34
	v_cndmask_b32_e64 v8, v8, v10, s[2:3]
	v_cmp_class_f32_e64 s[28:29], v0, s34
	v_bfi_b32 v8, s39, v8, v25
	v_cndmask_b32_e64 v10, v6, v8, s[0:1]
	v_cmp_gt_f32_e64 s[0:1], 0, v0
	s_or_b64 vcc, vcc, s[28:29]
	v_cndmask_b32_e64 v8, v8, v10, s[0:1]
	s_add_u32 s0, s8, s26
	s_addc_u32 s1, s9, s27
	v_cndmask_b32_e32 v8, v8, v26, vcc
	global_load_dword v10, v2, s[0:1]
	v_cmp_o_f32_e32 vcc, v0, v0
	v_cndmask_b32_e32 v22, v6, v8, vcc
	v_mov_b32_e32 v11, 0x3e91f4c4
	s_ashr_i32 s13, s12, 31
	s_waitcnt vmcnt(0)
	v_add_f32_e32 v23, v1, v10
	v_frexp_mant_f32_e64 v8, |v23|
	v_cmp_eq_f32_e32 vcc, 1.0, v23
	v_cmp_gt_f32_e64 s[0:1], s30, v8
	v_cndmask_b32_e64 v24, 2.0, 1.0, vcc
	v_cndmask_b32_e64 v12, 1.0, 2.0, s[0:1]
	v_mul_f32_e32 v13, 0.5, v24
	v_mul_f32_e32 v8, v8, v12
	v_cvt_f64_f32_e64 v[0:1], |v23|
	v_trunc_f32_e32 v12, v13
	v_add_f32_e32 v15, 1.0, v8
	v_frexp_exp_i32_f64_e32 v0, v[0:1]
	v_cmp_neq_f32_e64 s[2:3], v12, v13
	v_rcp_f32_e32 v13, v15
	v_subbrev_co_u32_e64 v0, s[0:1], 0, v0, s[0:1]
	v_trunc_f32_e32 v1, v24
	v_cvt_f32_i32_e32 v0, v0
	v_cmp_eq_f32_e64 s[0:1], v1, v24
	v_add_f32_e32 v1, -1.0, v8
	v_cmp_eq_f32_e32 vcc, 0, v23
	v_add_f32_e32 v12, -1.0, v15
	s_and_b64 s[2:3], s[0:1], s[2:3]
	v_mul_f32_e32 v18, v1, v13
	v_cndmask_b32_e64 v10, v5, 0, vcc
	v_sub_f32_e32 v8, v8, v12
	v_cndmask_b32_e64 v12, 0, v23, s[2:3]
	v_mul_f32_e32 v14, v15, v18
	v_bfi_b32 v26, s39, v10, v12
	v_mul_f32_e32 v10, 0x3f317218, v0
	v_fma_f32 v16, v18, v15, -v14
	v_fma_f32 v12, v0, s31, -v10
	v_fmac_f32_e32 v16, v18, v8
	v_fmac_f32_e32 v12, 0xb102e308, v0
	v_add_f32_e32 v0, v14, v16
	v_sub_f32_e32 v15, v1, v0
	v_mov_b32_e32 v17, v0
	v_pk_add_f32 v[0:1], v[0:1], v[14:15] neg_lo:[0,1] neg_hi:[0,1]
	v_pk_add_f32 v[0:1], v[0:1], v[16:17] neg_lo:[0,1] neg_hi:[0,1]
	v_add_f32_e32 v0, v0, v1
	v_add_f32_e32 v0, v15, v0
	v_mul_f32_e32 v1, v13, v0
	v_add_f32_e32 v0, v18, v1
	v_sub_f32_e32 v8, v0, v18
	v_mul_f32_e32 v15, v0, v0
	v_sub_f32_e32 v8, v1, v8
	v_fma_f32 v1, v0, v0, -v15
	v_add_f32_e32 v14, v8, v8
	v_fmac_f32_e32 v1, v0, v14
	v_add_f32_e32 v14, v15, v1
	v_fmac_f32_e32 v11, 0x3e76c4e1, v14
	v_sub_f32_e32 v15, v14, v15
	v_fma_f32 v11, v14, v11, v3
	v_sub_f32_e32 v28, v1, v15
	v_mul_f32_e32 v1, v14, v11
	v_fma_f32 v15, v14, v11, -v1
	v_fmac_f32_e32 v15, v28, v11
	v_add_f32_e32 v11, v1, v15
	v_add_f32_e32 v17, 0x3f2aaaaa, v11
	v_sub_f32_e32 v1, v11, v1
	v_sub_f32_e32 v1, v15, v1
	v_add_f32_e32 v15, 0xbf2aaaaa, v17
	v_add_f32_e32 v1, 0x31739010, v1
	v_sub_f32_e32 v15, v11, v15
	v_pk_mul_f32 v[18:19], v[0:1], v[14:15]
	v_fma_f32 v16, v14, v0, -v18
	v_pk_add_f32 v[20:21], v[0:1], v[14:15]
	v_fmac_f32_e32 v16, v14, v8
	v_mov_b32_e32 v19, v21
	v_fmac_f32_e32 v16, v28, v0
	v_ldexp_f32 v13, v0, 1
	v_pk_add_f32 v[0:1], v[18:19], v[16:17]
	v_ldexp_f32 v27, v8, 1
	v_sub_f32_e32 v14, v17, v1
	v_mov_b32_e32 v8, v1
	v_sub_f32_e32 v11, v0, v18
	v_add_f32_e32 v17, v21, v14
	v_pk_mul_f32 v[14:15], v[0:1], v[8:9]
	v_sub_f32_e32 v11, v16, v11
	v_fma_f32 v16, v0, v1, -v14
	v_fmac_f32_e32 v16, v0, v17
	v_fmac_f32_e32 v16, v11, v1
	v_add_f32_e32 v11, v14, v16
	v_pk_add_f32 v[0:1], v[10:11], v[12:13]
	v_mov_b32_e32 v15, v13
	v_mov_b32_e32 v18, v11
	;; [unrolled: 1-line block ×4, first 2 shown]
	v_pk_add_f32 v[14:15], v[18:19], v[14:15] neg_lo:[0,1] neg_hi:[0,1]
	v_pk_add_f32 v[14:15], v[16:17], v[14:15] neg_lo:[0,1] neg_hi:[0,1]
	v_add_f32_e32 v8, v27, v14
	v_add_f32_e32 v11, v8, v15
	v_pk_add_f32 v[14:15], v[0:1], v[10:11] neg_lo:[0,1] neg_hi:[0,1]
	v_pk_add_f32 v[16:17], v[0:1], v[10:11]
	v_mov_b32_e32 v13, v0
	v_mov_b32_e32 v18, v14
	;; [unrolled: 1-line block ×3, first 2 shown]
	v_pk_add_f32 v[18:19], v[12:13], v[18:19]
	v_mov_b32_e32 v8, v19
	v_mov_b32_e32 v20, v1
	v_pk_add_f32 v[0:1], v[8:9], v[0:1] neg_lo:[0,1] neg_hi:[0,1]
	v_mov_b32_e32 v18, v17
	v_mov_b32_e32 v1, v0
	v_mov_b32_e32 v21, v0
	v_pk_add_f32 v[14:15], v[12:13], v[14:15] neg_lo:[0,1] neg_hi:[0,1]
	v_mov_b32_e32 v12, v11
	v_pk_add_f32 v[0:1], v[16:17], v[0:1] neg_lo:[0,1] neg_hi:[0,1]
	v_pk_add_f32 v[10:11], v[18:19], v[20:21] neg_lo:[0,1] neg_hi:[0,1]
	;; [unrolled: 1-line block ×3, first 2 shown]
	v_mov_b32_e32 v0, v14
	v_pk_add_f32 v[0:1], v[0:1], v[10:11]
	v_mov_b32_e32 v12, v1
	v_pk_add_f32 v[12:13], v[0:1], v[12:13]
	v_pk_add_f32 v[16:17], v[8:9], v[12:13]
	v_mov_b32_e32 v15, v19
	v_mov_b32_e32 v1, v16
	;; [unrolled: 1-line block ×3, first 2 shown]
	v_pk_add_f32 v[12:13], v[0:1], v[14:15] neg_lo:[0,1] neg_hi:[0,1]
	v_sub_f32_e32 v0, v0, v12
	v_pk_add_f32 v[10:11], v[10:11], v[12:13] neg_lo:[0,1] neg_hi:[0,1]
	v_sub_f32_e32 v0, v14, v0
	v_add_f32_e32 v0, v10, v0
	v_add_f32_e32 v0, v0, v11
	;; [unrolled: 1-line block ×3, first 2 shown]
	v_sub_f32_e32 v8, v1, v16
	v_mul_f32_e32 v10, v24, v1
	v_sub_f32_e32 v0, v0, v8
	v_fma_f32 v1, v24, v1, -v10
	v_fmac_f32_e32 v1, v24, v0
	v_cndmask_b32_e64 v25, 1.0, v23, s[2:3]
	v_add_f32_e32 v0, v10, v1
	v_cmp_class_f32_e64 s[2:3], v10, s34
	v_sub_f32_e32 v8, v0, v10
	v_cndmask_b32_e64 v0, v0, v10, s[2:3]
	v_cmp_eq_f32_e64 s[2:3], s36, v0
	v_sub_f32_e32 v1, v1, v8
	v_cndmask_b32_e64 v8, 0, v4, s[2:3]
	v_sub_f32_e32 v10, v0, v8
	v_mul_f32_e32 v11, 0x3fb8aa3b, v10
	v_fma_f32 v12, v10, s37, -v11
	v_rndne_f32_e32 v13, v11
	v_fmac_f32_e32 v12, 0x32a5705f, v10
	v_sub_f32_e32 v11, v11, v13
	v_add_f32_e32 v11, v11, v12
	v_cvt_i32_f32_e32 v13, v13
	v_exp_f32_e32 v11, v11
	v_cmp_neq_f32_e64 s[2:3], |v0|, s35
	v_cndmask_b32_e64 v0, 0, v1, s[2:3]
	v_cmp_ngt_f32_e64 s[2:3], s38, v10
	v_ldexp_f32 v1, v11, v13
	v_cndmask_b32_e64 v1, 0, v1, s[2:3]
	v_cmp_nlt_f32_e64 s[2:3], s36, v10
	v_add_f32_e32 v0, v8, v0
	v_cndmask_b32_e64 v1, v5, v1, s[2:3]
	v_fma_f32 v0, v1, v0, v1
	v_cmp_class_f32_e64 s[2:3], v1, s34
	v_cndmask_b32_e64 v0, v0, v1, s[2:3]
	v_bfi_b32 v0, s39, v0, v25
	v_cmp_class_f32_e64 s[26:27], v23, s34
	v_cndmask_b32_e64 v1, v6, v0, s[0:1]
	v_cmp_gt_f32_e64 s[0:1], 0, v23
	v_cndmask_b32_e64 v0, v0, v1, s[0:1]
	s_or_b64 vcc, vcc, s[26:27]
	v_cndmask_b32_e32 v0, v0, v26, vcc
	v_mul_f32_e32 v0, 0x3e800000, v0
	v_cmp_o_f32_e32 vcc, v23, v23
	v_cndmask_b32_e32 v0, v6, v0, vcc
	v_add_f32_e32 v0, v22, v0
	v_mul_f32_e32 v1, 0x4f800000, v0
	v_cmp_gt_f32_e32 vcc, s40, v0
	v_cndmask_b32_e32 v0, v0, v1, vcc
	v_sqrt_f32_e32 v1, v0
	s_lshl_b64 s[2:3], s[12:13], 2
	s_add_u32 s2, s8, s2
	s_addc_u32 s3, s9, s3
	v_add_u32_e32 v8, -1, v1
	v_add_u32_e32 v10, 1, v1
	v_fma_f32 v11, -v8, v1, v0
	v_fma_f32 v12, -v10, v1, v0
	v_cmp_ge_f32_e64 s[0:1], 0, v11
	v_cndmask_b32_e64 v1, v1, v8, s[0:1]
	v_cmp_lt_f32_e64 s[0:1], 0, v12
	v_cndmask_b32_e64 v1, v1, v10, s[0:1]
	v_mul_f32_e32 v8, 0x37800000, v1
	v_cndmask_b32_e32 v1, v1, v8, vcc
	v_cmp_class_f32_e32 vcc, v0, v7
	v_cndmask_b32_e32 v0, v1, v0, vcc
	v_mul_f32_e32 v0, v9, v0
	global_store_dword v2, v0, s[2:3]
	global_load_dword v1, v2, s[24:25] offset:12
	s_waitcnt vmcnt(0)
	v_cmp_nlt_f32_e32 vcc, 0, v1
	s_cbranch_vccnz .LBB1_7
; %bb.9:                                ;   in Loop: Header=BB1_8 Depth=1
	v_xor_b32_e32 v0, 0x80000000, v0
	global_store_dword v2, v0, s[2:3]
	s_branch .LBB1_7
.LBB1_10:
	s_add_i32 s16, s6, -1
	s_cmp_gt_i32 s16, s19
	s_cselect_b64 s[0:1], -1, 0
	s_cmp_lt_i32 s7, 3
	s_cselect_b64 s[2:3], -1, 0
	s_or_b64 s[0:1], s[0:1], s[2:3]
	s_and_b64 vcc, exec, s[0:1]
	s_cbranch_vccnz .LBB1_13
; %bb.11:
	s_add_i32 s19, s7, -2
	s_add_u32 s12, s14, 8
	s_mul_i32 s0, s6, 24
	s_addc_u32 s13, s15, 0
	s_add_i32 s24, s0, -9
	v_mov_b32_e32 v0, 0
	s_mov_b32 s30, 0x3f2aaaab
	v_mov_b32_e32 v1, 0x3ecccdef
	s_mov_b32 s31, 0x3f317218
	s_movk_i32 s34, 0x204
	s_mov_b32 s35, 0x7f800000
	s_mov_b32 s36, 0x42b17218
	v_mov_b32_e32 v2, 0x37000000
	s_mov_b32 s37, 0x3fb8aa3b
	s_mov_b32 s38, 0xc2ce8ed0
	v_mov_b32_e32 v3, 0x7f800000
	s_brev_b32 s39, -2
	v_mov_b32_e32 v4, 0x7fc00000
	s_mov_b32 s40, 0xf800000
	v_mov_b32_e32 v5, 0x260
.LBB1_12:                               ; =>This Inner Loop Header: Depth=1
	s_add_i32 s0, s24, -11
	s_ashr_i32 s1, s0, 31
	s_lshl_b64 s[0:1], s[0:1], 2
	s_add_u32 s0, s8, s0
	s_addc_u32 s1, s9, s1
	global_load_dword v9, v0, s[0:1]
	global_load_dword v8, v0, s[12:13]
	v_mov_b32_e32 v6, 0x3e91f4c4
	v_mov_b32_e32 v7, 0x3e91f4c4
	s_ashr_i32 s25, s24, 31
	s_lshl_b64 s[4:5], s[24:25], 2
	s_waitcnt vmcnt(1)
	v_cmp_eq_f32_e32 vcc, 1.0, v9
	v_frexp_mant_f32_e64 v12, |v9|
	v_cndmask_b32_e64 v24, 2.0, 1.0, vcc
	v_cmp_gt_f32_e32 vcc, s30, v12
	v_cndmask_b32_e64 v14, 1.0, 2.0, vcc
	v_cvt_f64_f32_e64 v[10:11], |v9|
	v_mul_f32_e32 v15, 0.5, v24
	v_mul_f32_e32 v12, v12, v14
	v_frexp_exp_i32_f64_e32 v10, v[10:11]
	v_trunc_f32_e32 v14, v15
	v_add_f32_e32 v17, 1.0, v12
	v_trunc_f32_e32 v11, v24
	v_subbrev_co_u32_e32 v10, vcc, 0, v10, vcc
	v_cmp_neq_f32_e64 s[2:3], v14, v15
	v_rcp_f32_e32 v15, v17
	v_cmp_eq_f32_e32 vcc, v11, v24
	v_cmp_eq_f32_e64 s[0:1], 0, v9
	v_cvt_f32_i32_e32 v10, v10
	v_add_f32_e32 v14, -1.0, v17
	s_and_b64 s[2:3], vcc, s[2:3]
	v_cndmask_b32_e64 v13, v3, 0, s[0:1]
	v_add_f32_e32 v11, -1.0, v12
	v_sub_f32_e32 v19, v12, v14
	v_cndmask_b32_e64 v12, 0, v9, s[2:3]
	v_bfi_b32 v26, s39, v13, v12
	v_mul_f32_e32 v13, v11, v15
	v_mul_f32_e32 v16, v17, v13
	;; [unrolled: 1-line block ×3, first 2 shown]
	v_fma_f32 v18, v13, v17, -v16
	v_fma_f32 v14, v10, s31, -v12
	v_fmac_f32_e32 v18, v13, v19
	v_fmac_f32_e32 v14, 0xb102e308, v10
	v_add_f32_e32 v10, v16, v18
	v_sub_f32_e32 v17, v11, v10
	v_mov_b32_e32 v19, v10
	v_pk_add_f32 v[10:11], v[10:11], v[16:17] neg_lo:[0,1] neg_hi:[0,1]
	v_pk_add_f32 v[10:11], v[10:11], v[18:19] neg_lo:[0,1] neg_hi:[0,1]
	v_add_f32_e32 v10, v10, v11
	v_add_f32_e32 v10, v17, v10
	v_mul_f32_e32 v11, v15, v10
	v_add_f32_e32 v10, v13, v11
	v_sub_f32_e32 v13, v10, v13
	v_mul_f32_e32 v17, v10, v10
	v_sub_f32_e32 v13, v11, v13
	v_fma_f32 v11, v10, v10, -v17
	v_add_f32_e32 v16, v13, v13
	v_fmac_f32_e32 v11, v10, v16
	v_add_f32_e32 v16, v17, v11
	v_fmac_f32_e32 v6, 0x3e76c4e1, v16
	v_sub_f32_e32 v17, v16, v17
	v_fma_f32 v6, v16, v6, v1
	v_sub_f32_e32 v28, v11, v17
	v_mul_f32_e32 v11, v16, v6
	v_fma_f32 v17, v16, v6, -v11
	v_fmac_f32_e32 v17, v28, v6
	v_add_f32_e32 v6, v11, v17
	v_add_f32_e32 v19, 0x3f2aaaaa, v6
	v_sub_f32_e32 v11, v6, v11
	v_sub_f32_e32 v11, v17, v11
	v_add_f32_e32 v17, 0xbf2aaaaa, v19
	v_add_f32_e32 v11, 0x31739010, v11
	v_sub_f32_e32 v17, v6, v17
	v_pk_mul_f32 v[20:21], v[10:11], v[16:17]
	v_fma_f32 v18, v16, v10, -v20
	v_pk_add_f32 v[22:23], v[10:11], v[16:17]
	v_fmac_f32_e32 v18, v16, v13
	v_mov_b32_e32 v21, v23
	v_fmac_f32_e32 v18, v28, v10
	v_ldexp_f32 v15, v10, 1
	v_pk_add_f32 v[10:11], v[20:21], v[18:19]
	v_sub_f32_e32 v16, v19, v11
	v_mov_b32_e32 v6, v11
	v_ldexp_f32 v27, v13, 1
	v_sub_f32_e32 v13, v10, v20
	v_add_f32_e32 v19, v23, v16
	v_pk_mul_f32 v[16:17], v[10:11], v[6:7]
	v_sub_f32_e32 v13, v18, v13
	v_fma_f32 v18, v10, v11, -v16
	v_fmac_f32_e32 v18, v10, v19
	v_fmac_f32_e32 v18, v13, v11
	v_add_f32_e32 v13, v16, v18
	v_pk_add_f32 v[10:11], v[12:13], v[14:15]
	v_mov_b32_e32 v17, v15
	v_mov_b32_e32 v20, v13
	;; [unrolled: 1-line block ×4, first 2 shown]
	v_pk_add_f32 v[16:17], v[20:21], v[16:17] neg_lo:[0,1] neg_hi:[0,1]
	v_pk_add_f32 v[16:17], v[18:19], v[16:17] neg_lo:[0,1] neg_hi:[0,1]
	v_add_f32_e32 v6, v27, v16
	v_add_f32_e32 v13, v6, v17
	v_pk_add_f32 v[16:17], v[10:11], v[12:13] neg_lo:[0,1] neg_hi:[0,1]
	v_pk_add_f32 v[18:19], v[10:11], v[12:13]
	v_mov_b32_e32 v15, v10
	v_mov_b32_e32 v20, v16
	;; [unrolled: 1-line block ×3, first 2 shown]
	v_pk_add_f32 v[20:21], v[14:15], v[20:21]
	v_mov_b32_e32 v6, v21
	v_mov_b32_e32 v22, v11
	v_pk_add_f32 v[10:11], v[6:7], v[10:11] neg_lo:[0,1] neg_hi:[0,1]
	v_mov_b32_e32 v20, v19
	v_mov_b32_e32 v11, v10
	v_mov_b32_e32 v23, v10
	v_pk_add_f32 v[16:17], v[14:15], v[16:17] neg_lo:[0,1] neg_hi:[0,1]
	v_mov_b32_e32 v14, v13
	v_pk_add_f32 v[10:11], v[18:19], v[10:11] neg_lo:[0,1] neg_hi:[0,1]
	v_pk_add_f32 v[12:13], v[20:21], v[22:23] neg_lo:[0,1] neg_hi:[0,1]
	;; [unrolled: 1-line block ×3, first 2 shown]
	v_mov_b32_e32 v10, v16
	v_pk_add_f32 v[10:11], v[10:11], v[12:13]
	v_mov_b32_e32 v14, v11
	v_pk_add_f32 v[14:15], v[10:11], v[14:15]
	v_pk_add_f32 v[18:19], v[6:7], v[14:15]
	v_mov_b32_e32 v17, v21
	v_mov_b32_e32 v11, v18
	;; [unrolled: 1-line block ×3, first 2 shown]
	v_pk_add_f32 v[14:15], v[10:11], v[16:17] neg_lo:[0,1] neg_hi:[0,1]
	v_sub_f32_e32 v6, v10, v14
	v_pk_add_f32 v[12:13], v[12:13], v[14:15] neg_lo:[0,1] neg_hi:[0,1]
	v_sub_f32_e32 v6, v16, v6
	v_add_f32_e32 v6, v12, v6
	v_add_f32_e32 v6, v6, v13
	;; [unrolled: 1-line block ×3, first 2 shown]
	v_sub_f32_e32 v11, v10, v18
	v_mul_f32_e32 v12, v24, v10
	v_sub_f32_e32 v6, v6, v11
	v_fma_f32 v10, v24, v10, -v12
	v_fmac_f32_e32 v10, v24, v6
	v_cndmask_b32_e64 v25, 1.0, v9, s[2:3]
	v_add_f32_e32 v6, v12, v10
	v_cmp_class_f32_e64 s[2:3], v12, s34
	v_sub_f32_e32 v11, v6, v12
	v_cndmask_b32_e64 v6, v6, v12, s[2:3]
	v_cmp_eq_f32_e64 s[2:3], s36, v6
	v_sub_f32_e32 v10, v10, v11
	v_cndmask_b32_e64 v11, 0, v2, s[2:3]
	v_cmp_neq_f32_e64 s[2:3], |v6|, s35
	v_cndmask_b32_e64 v10, 0, v10, s[2:3]
	v_sub_f32_e32 v6, v6, v11
	v_add_f32_e32 v10, v11, v10
	v_mul_f32_e32 v11, 0x3fb8aa3b, v6
	v_fma_f32 v12, v6, s37, -v11
	v_rndne_f32_e32 v13, v11
	v_fmac_f32_e32 v12, 0x32a5705f, v6
	v_sub_f32_e32 v11, v11, v13
	v_add_f32_e32 v11, v11, v12
	v_cvt_i32_f32_e32 v13, v13
	v_exp_f32_e32 v11, v11
	v_cmp_ngt_f32_e64 s[2:3], s38, v6
	v_cmp_class_f32_e64 s[26:27], v9, s34
	s_or_b64 s[0:1], s[0:1], s[26:27]
	v_ldexp_f32 v11, v11, v13
	v_cndmask_b32_e64 v11, 0, v11, s[2:3]
	v_cmp_nlt_f32_e64 s[2:3], s36, v6
	v_cndmask_b32_e64 v6, v3, v11, s[2:3]
	v_fma_f32 v10, v6, v10, v6
	v_cmp_class_f32_e64 s[2:3], v6, s34
	v_cndmask_b32_e64 v6, v10, v6, s[2:3]
	v_bfi_b32 v6, s39, v6, v25
	v_cndmask_b32_e32 v10, v4, v6, vcc
	v_cmp_gt_f32_e32 vcc, 0, v9
	v_cndmask_b32_e32 v6, v6, v10, vcc
	v_cndmask_b32_e64 v6, v6, v26, s[0:1]
	s_add_u32 s2, s8, s4
	v_cmp_o_f32_e64 s[0:1], v9, v9
	v_cndmask_b32_e64 v9, v4, v6, s[0:1]
	s_addc_u32 s3, s9, s5
	s_add_i32 s0, s24, -12
	s_ashr_i32 s1, s0, 31
	s_lshl_b64 s[0:1], s[0:1], 2
	s_add_u32 s0, s8, s0
	s_addc_u32 s1, s9, s1
	global_load_dword v6, v0, s[2:3]
	global_load_dword v10, v0, s[0:1]
	s_add_i32 s2, s24, -2
	s_ashr_i32 s3, s2, 31
	s_lshl_b64 s[26:27], s[2:3], 2
	s_waitcnt vmcnt(0)
	v_add_f32_e32 v22, v6, v10
	v_frexp_mant_f32_e64 v6, |v22|
	v_cmp_gt_f32_e64 s[2:3], s30, v6
	v_cndmask_b32_e64 v13, 1.0, 2.0, s[2:3]
	v_mul_f32_e32 v6, v6, v13
	v_cmp_eq_f32_e64 s[0:1], 1.0, v22
	v_cvt_f64_f32_e64 v[10:11], |v22|
	v_add_f32_e32 v15, 1.0, v6
	v_cndmask_b32_e64 v23, 2.0, 1.0, s[0:1]
	v_frexp_exp_i32_f64_e32 v10, v[10:11]
	v_rcp_f32_e32 v18, v15
	v_mul_f32_e32 v14, 0.5, v23
	v_subbrev_co_u32_e64 v10, s[2:3], 0, v10, s[2:3]
	v_trunc_f32_e32 v11, v23
	v_trunc_f32_e32 v13, v14
	v_cvt_f32_i32_e32 v10, v10
	v_cmp_eq_f32_e64 s[2:3], v11, v23
	v_add_f32_e32 v11, -1.0, v6
	v_cmp_neq_f32_e64 s[4:5], v13, v14
	v_cmp_eq_f32_e64 s[0:1], 0, v22
	v_add_f32_e32 v13, -1.0, v15
	s_and_b64 s[4:5], s[2:3], s[4:5]
	v_mul_f32_e32 v19, v11, v18
	v_cndmask_b32_e64 v12, v3, 0, s[0:1]
	v_sub_f32_e32 v13, v6, v13
	v_cndmask_b32_e64 v6, 0, v22, s[4:5]
	v_mul_f32_e32 v14, v15, v19
	v_bfi_b32 v25, s39, v12, v6
	v_mul_f32_e32 v6, 0x3f317218, v10
	v_fma_f32 v16, v19, v15, -v14
	v_fma_f32 v12, v10, s31, -v6
	v_fmac_f32_e32 v16, v19, v13
	v_fmac_f32_e32 v12, 0xb102e308, v10
	v_add_f32_e32 v10, v14, v16
	v_sub_f32_e32 v15, v11, v10
	v_mov_b32_e32 v17, v10
	v_pk_add_f32 v[10:11], v[10:11], v[14:15] neg_lo:[0,1] neg_hi:[0,1]
	v_pk_add_f32 v[10:11], v[10:11], v[16:17] neg_lo:[0,1] neg_hi:[0,1]
	v_add_f32_e32 v10, v10, v11
	v_add_f32_e32 v10, v15, v10
	v_mul_f32_e32 v11, v18, v10
	v_add_f32_e32 v10, v19, v11
	v_sub_f32_e32 v14, v10, v19
	v_mul_f32_e32 v15, v10, v10
	v_sub_f32_e32 v26, v11, v14
	v_fma_f32 v11, v10, v10, -v15
	v_add_f32_e32 v14, v26, v26
	v_fmac_f32_e32 v11, v10, v14
	v_add_f32_e32 v14, v15, v11
	v_fmac_f32_e32 v7, 0x3e76c4e1, v14
	v_sub_f32_e32 v15, v14, v15
	v_fma_f32 v7, v14, v7, v1
	v_sub_f32_e32 v28, v11, v15
	v_mul_f32_e32 v11, v14, v7
	v_fma_f32 v15, v14, v7, -v11
	v_fmac_f32_e32 v15, v28, v7
	v_add_f32_e32 v7, v11, v15
	v_add_f32_e32 v17, 0x3f2aaaaa, v7
	v_sub_f32_e32 v11, v7, v11
	v_sub_f32_e32 v11, v15, v11
	v_add_f32_e32 v15, 0xbf2aaaaa, v17
	v_add_f32_e32 v11, 0x31739010, v11
	v_sub_f32_e32 v15, v7, v15
	v_pk_mul_f32 v[18:19], v[10:11], v[14:15]
	v_fma_f32 v16, v14, v10, -v18
	v_pk_add_f32 v[20:21], v[10:11], v[14:15]
	v_fmac_f32_e32 v16, v14, v26
	v_mov_b32_e32 v19, v21
	v_fmac_f32_e32 v16, v28, v10
	v_ldexp_f32 v13, v10, 1
	v_pk_add_f32 v[10:11], v[18:19], v[16:17]
	v_sub_f32_e32 v15, v17, v11
	v_mov_b32_e32 v14, v11
	v_sub_f32_e32 v7, v10, v18
	v_add_f32_e32 v17, v21, v15
	v_pk_mul_f32 v[14:15], v[10:11], v[14:15]
	v_sub_f32_e32 v7, v16, v7
	v_fma_f32 v16, v10, v11, -v14
	v_fmac_f32_e32 v16, v10, v17
	v_fmac_f32_e32 v16, v7, v11
	v_add_f32_e32 v7, v14, v16
	v_pk_add_f32 v[10:11], v[6:7], v[12:13]
	v_mov_b32_e32 v15, v13
	v_mov_b32_e32 v18, v7
	v_mov_b32_e32 v19, v11
	v_mov_b32_e32 v17, v7
	v_pk_add_f32 v[14:15], v[18:19], v[14:15] neg_lo:[0,1] neg_hi:[0,1]
	v_ldexp_f32 v27, v26, 1
	v_pk_add_f32 v[14:15], v[16:17], v[14:15] neg_lo:[0,1] neg_hi:[0,1]
	v_add_f32_e32 v7, v27, v14
	v_add_f32_e32 v7, v7, v15
	v_pk_add_f32 v[14:15], v[10:11], v[6:7] neg_lo:[0,1] neg_hi:[0,1]
	v_pk_add_f32 v[16:17], v[10:11], v[6:7]
	v_mov_b32_e32 v13, v10
	v_mov_b32_e32 v18, v14
	;; [unrolled: 1-line block ×3, first 2 shown]
	v_pk_add_f32 v[18:19], v[12:13], v[18:19]
	v_mov_b32_e32 v6, v19
	v_mov_b32_e32 v20, v11
	v_pk_add_f32 v[10:11], v[6:7], v[10:11] neg_lo:[0,1] neg_hi:[0,1]
	v_pk_add_f32 v[14:15], v[12:13], v[14:15] neg_lo:[0,1] neg_hi:[0,1]
	v_mov_b32_e32 v12, v7
	v_mov_b32_e32 v18, v17
	;; [unrolled: 1-line block ×4, first 2 shown]
	v_pk_add_f32 v[10:11], v[16:17], v[6:7] neg_lo:[0,1] neg_hi:[0,1]
	v_pk_add_f32 v[16:17], v[18:19], v[20:21] neg_lo:[0,1] neg_hi:[0,1]
	;; [unrolled: 1-line block ×3, first 2 shown]
	v_mov_b32_e32 v10, v14
	v_pk_add_f32 v[10:11], v[10:11], v[12:13]
	v_mov_b32_e32 v16, v11
	v_pk_add_f32 v[16:17], v[10:11], v[16:17]
	v_pk_add_f32 v[6:7], v[6:7], v[16:17]
	v_mov_b32_e32 v15, v19
	v_mov_b32_e32 v11, v6
	v_mov_b32_e32 v13, v16
	v_pk_add_f32 v[16:17], v[10:11], v[14:15] neg_lo:[0,1] neg_hi:[0,1]
	v_sub_f32_e32 v7, v10, v16
	v_pk_add_f32 v[12:13], v[12:13], v[16:17] neg_lo:[0,1] neg_hi:[0,1]
	v_sub_f32_e32 v7, v14, v7
	v_add_f32_e32 v7, v12, v7
	v_add_f32_e32 v7, v7, v13
	;; [unrolled: 1-line block ×3, first 2 shown]
	v_sub_f32_e32 v6, v10, v6
	v_mul_f32_e32 v11, v23, v10
	v_sub_f32_e32 v6, v7, v6
	v_fma_f32 v7, v23, v10, -v11
	v_fmac_f32_e32 v7, v23, v6
	v_cndmask_b32_e64 v24, 1.0, v22, s[4:5]
	v_add_f32_e32 v6, v11, v7
	v_cmp_class_f32_e64 s[4:5], v11, s34
	v_sub_f32_e32 v10, v6, v11
	v_cndmask_b32_e64 v6, v6, v11, s[4:5]
	v_cmp_eq_f32_e64 s[4:5], s36, v6
	v_sub_f32_e32 v7, v7, v10
	v_cndmask_b32_e64 v10, 0, v2, s[4:5]
	v_cmp_neq_f32_e64 s[4:5], |v6|, s35
	v_cndmask_b32_e64 v7, 0, v7, s[4:5]
	v_sub_f32_e32 v6, v6, v10
	v_add_f32_e32 v7, v10, v7
	v_mul_f32_e32 v10, 0x3fb8aa3b, v6
	v_fma_f32 v11, v6, s37, -v10
	v_rndne_f32_e32 v12, v10
	v_fmac_f32_e32 v11, 0x32a5705f, v6
	v_sub_f32_e32 v10, v10, v12
	v_add_f32_e32 v10, v10, v11
	v_cvt_i32_f32_e32 v12, v12
	v_exp_f32_e32 v10, v10
	v_cmp_ngt_f32_e64 s[4:5], s38, v6
	v_cmp_class_f32_e64 s[28:29], v22, s34
	s_or_b64 s[0:1], s[0:1], s[28:29]
	v_ldexp_f32 v10, v10, v12
	v_cndmask_b32_e64 v10, 0, v10, s[4:5]
	v_cmp_nlt_f32_e64 s[4:5], s36, v6
	v_cndmask_b32_e64 v6, v3, v10, s[4:5]
	v_fma_f32 v7, v6, v7, v6
	v_cmp_class_f32_e64 s[4:5], v6, s34
	v_cndmask_b32_e64 v6, v7, v6, s[4:5]
	v_bfi_b32 v6, s39, v6, v24
	v_cndmask_b32_e64 v7, v4, v6, s[2:3]
	v_cmp_gt_f32_e64 s[2:3], 0, v22
	v_cndmask_b32_e64 v6, v6, v7, s[2:3]
	v_cndmask_b32_e64 v6, v6, v25, s[0:1]
	v_mul_f32_e32 v6, 0x3e800000, v6
	v_cmp_o_f32_e64 s[0:1], v22, v22
	v_cndmask_b32_e64 v6, v4, v6, s[0:1]
	v_add_f32_e32 v6, v9, v6
	v_mul_f32_e32 v7, 0x4f800000, v6
	v_cmp_gt_f32_e64 s[0:1], s40, v6
	v_cndmask_b32_e64 v6, v6, v7, s[0:1]
	v_sqrt_f32_e32 v7, v6
	s_add_u32 s4, s8, s26
	s_addc_u32 s5, s9, s27
	s_add_i32 s19, s19, -1
	v_add_u32_e32 v9, -1, v7
	v_add_u32_e32 v10, 1, v7
	v_fma_f32 v11, -v9, v7, v6
	v_fma_f32 v12, -v10, v7, v6
	v_cmp_ge_f32_e64 s[2:3], 0, v11
	v_cndmask_b32_e64 v7, v7, v9, s[2:3]
	v_cmp_lt_f32_e64 s[2:3], 0, v12
	v_cndmask_b32_e64 v7, v7, v10, s[2:3]
	v_mul_f32_e32 v9, 0x37800000, v7
	v_cndmask_b32_e64 v7, v7, v9, s[0:1]
	v_cmp_class_f32_e64 s[0:1], v6, v5
	s_add_u32 s12, s12, 4
	v_cndmask_b32_e64 v6, v7, v6, s[0:1]
	s_addc_u32 s13, s13, 0
	s_add_i32 s24, s24, s33
	v_mul_f32_e32 v6, v8, v6
	s_cmp_lg_u32 s19, 0
	v_cndmask_b32_e64 v6, v6, -v6, vcc
	global_store_dword v0, v6, s[4:5]
	s_cbranch_scc1 .LBB1_12
.LBB1_13:
	s_add_i32 s28, s7, -1
	s_cmp_gt_i32 s28, s18
	s_cbranch_scc1 .LBB1_17
; %bb.14:
	s_cmp_lt_i32 s6, 3
	s_cbranch_scc1 .LBB1_17
; %bb.15:
	s_mul_i32 s0, s6, s28
	s_add_u32 s29, s8, 12
	s_mul_i32 s0, s0, 12
	s_addc_u32 s30, s9, 0
	s_add_i32 s12, s0, 12
	s_add_i32 s0, s7, -2
	s_mul_i32 s0, s6, s0
	s_mul_i32 s0, s0, 12
	s_add_i32 s31, s6, -2
	s_add_i32 s18, s0, 12
	s_add_u32 s22, s22, 8
	s_addc_u32 s23, s23, 0
	v_mov_b32_e32 v0, 0
	s_mov_b32 s34, 0x3f2aaaab
	v_mov_b32_e32 v1, 0x3ecccdef
	s_mov_b32 s35, 0x3f317218
	s_movk_i32 s36, 0x204
	s_mov_b32 s37, 0x7f800000
	s_mov_b32 s38, 0x42b17218
	v_mov_b32_e32 v2, 0x37000000
	s_mov_b32 s39, 0x3fb8aa3b
	s_mov_b32 s40, 0xc2ce8ed0
	v_mov_b32_e32 v3, 0x7f800000
	s_brev_b32 s41, -2
	v_mov_b32_e32 v4, 0x7fc00000
	s_mov_b32 s42, 0xf800000
	v_mov_b32_e32 v5, 0x260
.LBB1_16:                               ; =>This Inner Loop Header: Depth=1
	s_ashr_i32 s19, s18, 31
	s_lshl_b64 s[0:1], s[18:19], 2
	s_add_u32 s0, s29, s0
	s_addc_u32 s1, s30, s1
	global_load_dword v9, v0, s[0:1]
	global_load_dword v8, v0, s[22:23]
	v_mov_b32_e32 v6, 0x3e91f4c4
	v_mov_b32_e32 v7, 0x3e91f4c4
	s_ashr_i32 s13, s12, 31
	s_lshl_b64 s[4:5], s[12:13], 2
	s_waitcnt vmcnt(1)
	v_cmp_eq_f32_e32 vcc, 1.0, v9
	v_frexp_mant_f32_e64 v12, |v9|
	v_cndmask_b32_e64 v24, 2.0, 1.0, vcc
	v_cmp_gt_f32_e32 vcc, s34, v12
	v_cndmask_b32_e64 v14, 1.0, 2.0, vcc
	v_cvt_f64_f32_e64 v[10:11], |v9|
	v_mul_f32_e32 v15, 0.5, v24
	v_mul_f32_e32 v12, v12, v14
	v_frexp_exp_i32_f64_e32 v10, v[10:11]
	v_trunc_f32_e32 v14, v15
	v_add_f32_e32 v17, 1.0, v12
	v_trunc_f32_e32 v11, v24
	v_subbrev_co_u32_e32 v10, vcc, 0, v10, vcc
	v_cmp_neq_f32_e64 s[2:3], v14, v15
	v_rcp_f32_e32 v15, v17
	v_cmp_eq_f32_e32 vcc, v11, v24
	v_cmp_eq_f32_e64 s[0:1], 0, v9
	v_cvt_f32_i32_e32 v10, v10
	v_add_f32_e32 v14, -1.0, v17
	s_and_b64 s[2:3], vcc, s[2:3]
	v_cndmask_b32_e64 v13, v3, 0, s[0:1]
	v_add_f32_e32 v11, -1.0, v12
	v_sub_f32_e32 v19, v12, v14
	v_cndmask_b32_e64 v12, 0, v9, s[2:3]
	v_bfi_b32 v26, s41, v13, v12
	v_mul_f32_e32 v13, v11, v15
	v_mul_f32_e32 v16, v17, v13
	;; [unrolled: 1-line block ×3, first 2 shown]
	v_fma_f32 v18, v13, v17, -v16
	v_fma_f32 v14, v10, s35, -v12
	v_fmac_f32_e32 v18, v13, v19
	v_fmac_f32_e32 v14, 0xb102e308, v10
	v_add_f32_e32 v10, v16, v18
	v_sub_f32_e32 v17, v11, v10
	v_mov_b32_e32 v19, v10
	v_pk_add_f32 v[10:11], v[10:11], v[16:17] neg_lo:[0,1] neg_hi:[0,1]
	v_pk_add_f32 v[10:11], v[10:11], v[18:19] neg_lo:[0,1] neg_hi:[0,1]
	v_add_f32_e32 v10, v10, v11
	v_add_f32_e32 v10, v17, v10
	v_mul_f32_e32 v11, v15, v10
	v_add_f32_e32 v10, v13, v11
	v_sub_f32_e32 v13, v10, v13
	v_mul_f32_e32 v17, v10, v10
	v_sub_f32_e32 v13, v11, v13
	v_fma_f32 v11, v10, v10, -v17
	v_add_f32_e32 v16, v13, v13
	v_fmac_f32_e32 v11, v10, v16
	v_add_f32_e32 v16, v17, v11
	v_fmac_f32_e32 v6, 0x3e76c4e1, v16
	v_sub_f32_e32 v17, v16, v17
	v_fma_f32 v6, v16, v6, v1
	v_sub_f32_e32 v28, v11, v17
	v_mul_f32_e32 v11, v16, v6
	v_fma_f32 v17, v16, v6, -v11
	v_fmac_f32_e32 v17, v28, v6
	v_add_f32_e32 v6, v11, v17
	v_add_f32_e32 v19, 0x3f2aaaaa, v6
	v_sub_f32_e32 v11, v6, v11
	v_sub_f32_e32 v11, v17, v11
	v_add_f32_e32 v17, 0xbf2aaaaa, v19
	v_add_f32_e32 v11, 0x31739010, v11
	v_sub_f32_e32 v17, v6, v17
	v_pk_mul_f32 v[20:21], v[10:11], v[16:17]
	v_fma_f32 v18, v16, v10, -v20
	v_pk_add_f32 v[22:23], v[10:11], v[16:17]
	v_fmac_f32_e32 v18, v16, v13
	v_mov_b32_e32 v21, v23
	v_fmac_f32_e32 v18, v28, v10
	v_ldexp_f32 v15, v10, 1
	v_pk_add_f32 v[10:11], v[20:21], v[18:19]
	v_sub_f32_e32 v16, v19, v11
	v_mov_b32_e32 v6, v11
	v_ldexp_f32 v27, v13, 1
	v_sub_f32_e32 v13, v10, v20
	v_add_f32_e32 v19, v23, v16
	v_pk_mul_f32 v[16:17], v[10:11], v[6:7]
	v_sub_f32_e32 v13, v18, v13
	v_fma_f32 v18, v10, v11, -v16
	v_fmac_f32_e32 v18, v10, v19
	v_fmac_f32_e32 v18, v13, v11
	v_add_f32_e32 v13, v16, v18
	v_pk_add_f32 v[10:11], v[12:13], v[14:15]
	v_mov_b32_e32 v17, v15
	v_mov_b32_e32 v20, v13
	;; [unrolled: 1-line block ×4, first 2 shown]
	v_pk_add_f32 v[16:17], v[20:21], v[16:17] neg_lo:[0,1] neg_hi:[0,1]
	v_pk_add_f32 v[16:17], v[18:19], v[16:17] neg_lo:[0,1] neg_hi:[0,1]
	v_add_f32_e32 v6, v27, v16
	v_add_f32_e32 v13, v6, v17
	v_pk_add_f32 v[16:17], v[10:11], v[12:13] neg_lo:[0,1] neg_hi:[0,1]
	v_pk_add_f32 v[18:19], v[10:11], v[12:13]
	v_mov_b32_e32 v15, v10
	v_mov_b32_e32 v20, v16
	;; [unrolled: 1-line block ×3, first 2 shown]
	v_pk_add_f32 v[20:21], v[14:15], v[20:21]
	v_mov_b32_e32 v6, v21
	v_mov_b32_e32 v22, v11
	v_pk_add_f32 v[10:11], v[6:7], v[10:11] neg_lo:[0,1] neg_hi:[0,1]
	v_mov_b32_e32 v20, v19
	v_mov_b32_e32 v11, v10
	;; [unrolled: 1-line block ×3, first 2 shown]
	v_pk_add_f32 v[16:17], v[14:15], v[16:17] neg_lo:[0,1] neg_hi:[0,1]
	v_mov_b32_e32 v14, v13
	v_pk_add_f32 v[10:11], v[18:19], v[10:11] neg_lo:[0,1] neg_hi:[0,1]
	v_pk_add_f32 v[12:13], v[20:21], v[22:23] neg_lo:[0,1] neg_hi:[0,1]
	;; [unrolled: 1-line block ×3, first 2 shown]
	v_mov_b32_e32 v10, v16
	v_pk_add_f32 v[10:11], v[10:11], v[12:13]
	v_mov_b32_e32 v14, v11
	v_pk_add_f32 v[14:15], v[10:11], v[14:15]
	v_pk_add_f32 v[18:19], v[6:7], v[14:15]
	v_mov_b32_e32 v17, v21
	v_mov_b32_e32 v11, v18
	;; [unrolled: 1-line block ×3, first 2 shown]
	v_pk_add_f32 v[14:15], v[10:11], v[16:17] neg_lo:[0,1] neg_hi:[0,1]
	v_sub_f32_e32 v6, v10, v14
	v_pk_add_f32 v[12:13], v[12:13], v[14:15] neg_lo:[0,1] neg_hi:[0,1]
	v_sub_f32_e32 v6, v16, v6
	v_add_f32_e32 v6, v12, v6
	v_add_f32_e32 v6, v6, v13
	;; [unrolled: 1-line block ×3, first 2 shown]
	v_sub_f32_e32 v11, v10, v18
	v_mul_f32_e32 v12, v24, v10
	v_sub_f32_e32 v6, v6, v11
	v_fma_f32 v10, v24, v10, -v12
	v_fmac_f32_e32 v10, v24, v6
	v_cndmask_b32_e64 v25, 1.0, v9, s[2:3]
	v_add_f32_e32 v6, v12, v10
	v_cmp_class_f32_e64 s[2:3], v12, s36
	v_sub_f32_e32 v11, v6, v12
	v_cndmask_b32_e64 v6, v6, v12, s[2:3]
	v_cmp_eq_f32_e64 s[2:3], s38, v6
	v_sub_f32_e32 v10, v10, v11
	v_cndmask_b32_e64 v11, 0, v2, s[2:3]
	v_cmp_neq_f32_e64 s[2:3], |v6|, s37
	v_cndmask_b32_e64 v10, 0, v10, s[2:3]
	v_sub_f32_e32 v6, v6, v11
	v_add_f32_e32 v10, v11, v10
	v_mul_f32_e32 v11, 0x3fb8aa3b, v6
	v_fma_f32 v12, v6, s39, -v11
	v_rndne_f32_e32 v13, v11
	v_fmac_f32_e32 v12, 0x32a5705f, v6
	v_sub_f32_e32 v11, v11, v13
	v_add_f32_e32 v11, v11, v12
	v_cvt_i32_f32_e32 v13, v13
	v_exp_f32_e32 v11, v11
	v_cmp_ngt_f32_e64 s[2:3], s40, v6
	v_cmp_class_f32_e64 s[24:25], v9, s36
	s_or_b64 s[0:1], s[0:1], s[24:25]
	v_ldexp_f32 v11, v11, v13
	v_cndmask_b32_e64 v11, 0, v11, s[2:3]
	v_cmp_nlt_f32_e64 s[2:3], s38, v6
	v_cndmask_b32_e64 v6, v3, v11, s[2:3]
	v_fma_f32 v10, v6, v10, v6
	v_cmp_class_f32_e64 s[2:3], v6, s36
	v_cndmask_b32_e64 v6, v10, v6, s[2:3]
	v_bfi_b32 v6, s41, v6, v25
	v_cndmask_b32_e32 v10, v4, v6, vcc
	v_cmp_gt_f32_e32 vcc, 0, v9
	v_cndmask_b32_e32 v6, v6, v10, vcc
	v_cndmask_b32_e64 v6, v6, v26, s[0:1]
	s_add_u32 s24, s8, s4
	v_cmp_o_f32_e64 s[0:1], v9, v9
	v_cndmask_b32_e64 v9, v4, v6, s[0:1]
	s_addc_u32 s25, s9, s5
	s_add_i32 s0, s12, -8
	s_ashr_i32 s1, s0, 31
	s_lshl_b64 s[0:1], s[0:1], 2
	s_add_u32 s0, s8, s0
	s_addc_u32 s1, s9, s1
	global_load_dword v6, v0, s[24:25] offset:16
	global_load_dword v10, v0, s[0:1]
	s_add_i32 s31, s31, -1
	s_add_i32 s12, s12, 12
	s_add_i32 s18, s18, 12
	s_waitcnt vmcnt(0)
	v_add_f32_e32 v22, v6, v10
	v_frexp_mant_f32_e64 v6, |v22|
	v_cmp_gt_f32_e64 s[2:3], s34, v6
	v_cndmask_b32_e64 v13, 1.0, 2.0, s[2:3]
	v_mul_f32_e32 v6, v6, v13
	v_cmp_eq_f32_e64 s[0:1], 1.0, v22
	v_cvt_f64_f32_e64 v[10:11], |v22|
	v_add_f32_e32 v15, 1.0, v6
	v_cndmask_b32_e64 v23, 2.0, 1.0, s[0:1]
	v_frexp_exp_i32_f64_e32 v10, v[10:11]
	v_rcp_f32_e32 v18, v15
	v_mul_f32_e32 v14, 0.5, v23
	v_subbrev_co_u32_e64 v10, s[2:3], 0, v10, s[2:3]
	v_trunc_f32_e32 v11, v23
	v_trunc_f32_e32 v13, v14
	v_cvt_f32_i32_e32 v10, v10
	v_cmp_eq_f32_e64 s[2:3], v11, v23
	v_add_f32_e32 v11, -1.0, v6
	v_cmp_neq_f32_e64 s[4:5], v13, v14
	v_cmp_eq_f32_e64 s[0:1], 0, v22
	v_add_f32_e32 v13, -1.0, v15
	s_and_b64 s[4:5], s[2:3], s[4:5]
	v_mul_f32_e32 v19, v11, v18
	v_cndmask_b32_e64 v12, v3, 0, s[0:1]
	v_sub_f32_e32 v13, v6, v13
	v_cndmask_b32_e64 v6, 0, v22, s[4:5]
	v_mul_f32_e32 v14, v15, v19
	v_bfi_b32 v25, s41, v12, v6
	v_mul_f32_e32 v6, 0x3f317218, v10
	v_fma_f32 v16, v19, v15, -v14
	v_fma_f32 v12, v10, s35, -v6
	v_fmac_f32_e32 v16, v19, v13
	v_fmac_f32_e32 v12, 0xb102e308, v10
	v_add_f32_e32 v10, v14, v16
	v_sub_f32_e32 v15, v11, v10
	v_mov_b32_e32 v17, v10
	v_pk_add_f32 v[10:11], v[10:11], v[14:15] neg_lo:[0,1] neg_hi:[0,1]
	v_pk_add_f32 v[10:11], v[10:11], v[16:17] neg_lo:[0,1] neg_hi:[0,1]
	v_add_f32_e32 v10, v10, v11
	v_add_f32_e32 v10, v15, v10
	v_mul_f32_e32 v11, v18, v10
	v_add_f32_e32 v10, v19, v11
	v_sub_f32_e32 v14, v10, v19
	v_mul_f32_e32 v15, v10, v10
	v_sub_f32_e32 v26, v11, v14
	v_fma_f32 v11, v10, v10, -v15
	v_add_f32_e32 v14, v26, v26
	v_fmac_f32_e32 v11, v10, v14
	v_add_f32_e32 v14, v15, v11
	v_fmac_f32_e32 v7, 0x3e76c4e1, v14
	v_sub_f32_e32 v15, v14, v15
	v_fma_f32 v7, v14, v7, v1
	v_sub_f32_e32 v28, v11, v15
	v_mul_f32_e32 v11, v14, v7
	v_fma_f32 v15, v14, v7, -v11
	v_fmac_f32_e32 v15, v28, v7
	v_add_f32_e32 v7, v11, v15
	v_add_f32_e32 v17, 0x3f2aaaaa, v7
	v_sub_f32_e32 v11, v7, v11
	v_sub_f32_e32 v11, v15, v11
	v_add_f32_e32 v15, 0xbf2aaaaa, v17
	v_add_f32_e32 v11, 0x31739010, v11
	v_sub_f32_e32 v15, v7, v15
	v_pk_mul_f32 v[18:19], v[10:11], v[14:15]
	v_fma_f32 v16, v14, v10, -v18
	v_pk_add_f32 v[20:21], v[10:11], v[14:15]
	v_fmac_f32_e32 v16, v14, v26
	v_mov_b32_e32 v19, v21
	v_fmac_f32_e32 v16, v28, v10
	v_ldexp_f32 v13, v10, 1
	v_pk_add_f32 v[10:11], v[18:19], v[16:17]
	v_sub_f32_e32 v15, v17, v11
	v_mov_b32_e32 v14, v11
	v_sub_f32_e32 v7, v10, v18
	v_add_f32_e32 v17, v21, v15
	v_pk_mul_f32 v[14:15], v[10:11], v[14:15]
	v_sub_f32_e32 v7, v16, v7
	v_fma_f32 v16, v10, v11, -v14
	v_fmac_f32_e32 v16, v10, v17
	v_fmac_f32_e32 v16, v7, v11
	v_add_f32_e32 v7, v14, v16
	v_pk_add_f32 v[10:11], v[6:7], v[12:13]
	v_mov_b32_e32 v15, v13
	v_mov_b32_e32 v18, v7
	;; [unrolled: 1-line block ×4, first 2 shown]
	v_pk_add_f32 v[14:15], v[18:19], v[14:15] neg_lo:[0,1] neg_hi:[0,1]
	v_ldexp_f32 v27, v26, 1
	v_pk_add_f32 v[14:15], v[16:17], v[14:15] neg_lo:[0,1] neg_hi:[0,1]
	v_add_f32_e32 v7, v27, v14
	v_add_f32_e32 v7, v7, v15
	v_pk_add_f32 v[14:15], v[10:11], v[6:7] neg_lo:[0,1] neg_hi:[0,1]
	v_pk_add_f32 v[16:17], v[10:11], v[6:7]
	v_mov_b32_e32 v13, v10
	v_mov_b32_e32 v18, v14
	;; [unrolled: 1-line block ×3, first 2 shown]
	v_pk_add_f32 v[18:19], v[12:13], v[18:19]
	v_mov_b32_e32 v6, v19
	v_mov_b32_e32 v20, v11
	v_pk_add_f32 v[10:11], v[6:7], v[10:11] neg_lo:[0,1] neg_hi:[0,1]
	v_pk_add_f32 v[14:15], v[12:13], v[14:15] neg_lo:[0,1] neg_hi:[0,1]
	v_mov_b32_e32 v12, v7
	v_mov_b32_e32 v18, v17
	;; [unrolled: 1-line block ×4, first 2 shown]
	v_pk_add_f32 v[10:11], v[16:17], v[6:7] neg_lo:[0,1] neg_hi:[0,1]
	v_pk_add_f32 v[16:17], v[18:19], v[20:21] neg_lo:[0,1] neg_hi:[0,1]
	;; [unrolled: 1-line block ×3, first 2 shown]
	v_mov_b32_e32 v10, v14
	v_pk_add_f32 v[10:11], v[10:11], v[12:13]
	v_mov_b32_e32 v16, v11
	v_pk_add_f32 v[16:17], v[10:11], v[16:17]
	v_pk_add_f32 v[6:7], v[6:7], v[16:17]
	v_mov_b32_e32 v15, v19
	v_mov_b32_e32 v11, v6
	;; [unrolled: 1-line block ×3, first 2 shown]
	v_pk_add_f32 v[16:17], v[10:11], v[14:15] neg_lo:[0,1] neg_hi:[0,1]
	v_sub_f32_e32 v7, v10, v16
	v_pk_add_f32 v[12:13], v[12:13], v[16:17] neg_lo:[0,1] neg_hi:[0,1]
	v_sub_f32_e32 v7, v14, v7
	v_add_f32_e32 v7, v12, v7
	v_add_f32_e32 v7, v7, v13
	;; [unrolled: 1-line block ×3, first 2 shown]
	v_sub_f32_e32 v6, v10, v6
	v_mul_f32_e32 v11, v23, v10
	v_sub_f32_e32 v6, v7, v6
	v_fma_f32 v7, v23, v10, -v11
	v_fmac_f32_e32 v7, v23, v6
	v_cndmask_b32_e64 v24, 1.0, v22, s[4:5]
	v_add_f32_e32 v6, v11, v7
	v_cmp_class_f32_e64 s[4:5], v11, s36
	v_sub_f32_e32 v10, v6, v11
	v_cndmask_b32_e64 v6, v6, v11, s[4:5]
	v_cmp_eq_f32_e64 s[4:5], s38, v6
	v_sub_f32_e32 v7, v7, v10
	v_cndmask_b32_e64 v10, 0, v2, s[4:5]
	v_cmp_neq_f32_e64 s[4:5], |v6|, s37
	v_cndmask_b32_e64 v7, 0, v7, s[4:5]
	v_sub_f32_e32 v6, v6, v10
	v_add_f32_e32 v7, v10, v7
	v_mul_f32_e32 v10, 0x3fb8aa3b, v6
	v_fma_f32 v11, v6, s39, -v10
	v_rndne_f32_e32 v12, v10
	v_fmac_f32_e32 v11, 0x32a5705f, v6
	v_sub_f32_e32 v10, v10, v12
	v_add_f32_e32 v10, v10, v11
	v_cvt_i32_f32_e32 v12, v12
	v_exp_f32_e32 v10, v10
	v_cmp_ngt_f32_e64 s[4:5], s40, v6
	v_cmp_class_f32_e64 s[26:27], v22, s36
	s_or_b64 s[0:1], s[0:1], s[26:27]
	v_ldexp_f32 v10, v10, v12
	v_cndmask_b32_e64 v10, 0, v10, s[4:5]
	v_cmp_nlt_f32_e64 s[4:5], s38, v6
	v_cndmask_b32_e64 v6, v3, v10, s[4:5]
	v_fma_f32 v7, v6, v7, v6
	v_cmp_class_f32_e64 s[4:5], v6, s36
	v_cndmask_b32_e64 v6, v7, v6, s[4:5]
	v_bfi_b32 v6, s41, v6, v24
	v_cndmask_b32_e64 v7, v4, v6, s[2:3]
	v_cmp_gt_f32_e64 s[2:3], 0, v22
	v_cndmask_b32_e64 v6, v6, v7, s[2:3]
	v_cndmask_b32_e64 v6, v6, v25, s[0:1]
	v_mul_f32_e32 v6, 0x3e800000, v6
	v_cmp_o_f32_e64 s[0:1], v22, v22
	v_cndmask_b32_e64 v6, v4, v6, s[0:1]
	v_add_f32_e32 v6, v9, v6
	v_mul_f32_e32 v7, 0x4f800000, v6
	v_cmp_gt_f32_e64 s[0:1], s42, v6
	v_cndmask_b32_e64 v6, v6, v7, s[0:1]
	v_sqrt_f32_e32 v7, v6
	s_add_u32 s22, s22, 4
	s_addc_u32 s23, s23, 0
	s_cmp_lg_u32 s31, 0
	v_add_u32_e32 v9, -1, v7
	v_add_u32_e32 v10, 1, v7
	v_fma_f32 v11, -v9, v7, v6
	v_fma_f32 v12, -v10, v7, v6
	v_cmp_ge_f32_e64 s[2:3], 0, v11
	v_cndmask_b32_e64 v7, v7, v9, s[2:3]
	v_cmp_lt_f32_e64 s[2:3], 0, v12
	v_cndmask_b32_e64 v7, v7, v10, s[2:3]
	v_mul_f32_e32 v9, 0x37800000, v7
	v_cndmask_b32_e64 v7, v7, v9, s[0:1]
	v_cmp_class_f32_e64 s[0:1], v6, v5
	v_cndmask_b32_e64 v6, v7, v6, s[0:1]
	v_mul_f32_e32 v6, v8, v6
	v_cndmask_b32_e64 v6, v6, -v6, vcc
	global_store_dword v0, v6, s[24:25] offset:4
	s_cbranch_scc1 .LBB1_16
.LBB1_17:
	s_andn2_b64 vcc, exec, s[20:21]
	s_cbranch_vccnz .LBB1_20
; %bb.18:
	v_mov_b32_e32 v2, 0
	global_load_dwordx2 v[0:1], v2, s[8:9] offset:12
	s_mov_b32 s21, 0x3f2aaaab
	s_mov_b32 s20, 0x3f317218
	v_mov_b32_e32 v8, 0x3e91f4c4
	v_mov_b32_e32 v5, 0x3ecccdef
	s_movk_i32 s12, 0x204
	s_mov_b32 s13, 0x42b17218
	v_mov_b32_e32 v6, 0x37000000
	s_mov_b32 s23, 0x3fb8aa3b
	s_mov_b32 s18, 0x7f800000
	;; [unrolled: 1-line block ×3, first 2 shown]
	v_mov_b32_e32 v4, 0x7f800000
	s_brev_b32 s19, -2
	v_mov_b32_e32 v3, 0x7fc00000
	s_mul_i32 s24, s28, s6
	global_load_dword v7, v2, s[10:11] offset:4
	s_waitcnt vmcnt(1)
	v_cmp_eq_f32_e32 vcc, 1.0, v0
	v_frexp_mant_f32_e64 v9, |v0|
	v_cndmask_b32_e64 v22, 2.0, 1.0, vcc
	v_cmp_gt_f32_e32 vcc, s21, v9
	v_cndmask_b32_e64 v12, 1.0, 2.0, vcc
	v_mul_f32_e32 v13, 0.5, v22
	v_mul_f32_e32 v9, v9, v12
	v_cvt_f64_f32_e64 v[10:11], |v0|
	v_trunc_f32_e32 v12, v13
	v_add_f32_e32 v15, 1.0, v9
	v_frexp_exp_i32_f64_e32 v10, v[10:11]
	v_cmp_neq_f32_e64 s[0:1], v12, v13
	v_rcp_f32_e32 v13, v15
	v_subbrev_co_u32_e32 v10, vcc, 0, v10, vcc
	v_trunc_f32_e32 v11, v22
	v_cvt_f32_i32_e32 v10, v10
	v_cmp_eq_f32_e32 vcc, v11, v22
	v_add_f32_e32 v11, -1.0, v9
	v_mul_f32_e32 v20, v11, v13
	v_add_f32_e32 v12, -1.0, v15
	v_mul_f32_e32 v16, v15, v20
	v_sub_f32_e32 v9, v9, v12
	v_mul_f32_e32 v12, 0x3f317218, v10
	v_fma_f32 v18, v20, v15, -v16
	v_fma_f32 v14, v10, s20, -v12
	v_fmac_f32_e32 v18, v20, v9
	v_fmac_f32_e32 v14, 0xb102e308, v10
	v_add_f32_e32 v10, v16, v18
	v_sub_f32_e32 v17, v11, v10
	v_mov_b32_e32 v19, v10
	v_pk_add_f32 v[10:11], v[10:11], v[16:17] neg_lo:[0,1] neg_hi:[0,1]
	v_pk_add_f32 v[10:11], v[10:11], v[18:19] neg_lo:[0,1] neg_hi:[0,1]
	v_add_f32_e32 v9, v10, v11
	v_add_f32_e32 v9, v17, v9
	v_mul_f32_e32 v9, v13, v9
	v_add_f32_e32 v10, v20, v9
	v_sub_f32_e32 v11, v10, v20
	v_mul_f32_e32 v13, v10, v10
	v_sub_f32_e32 v24, v9, v11
	v_fma_f32 v9, v10, v10, -v13
	v_add_f32_e32 v11, v24, v24
	v_fmac_f32_e32 v9, v10, v11
	v_add_f32_e32 v16, v13, v9
	v_fmac_f32_e32 v8, 0x3e76c4e1, v16
	v_sub_f32_e32 v11, v16, v13
	v_fma_f32 v8, v16, v8, v5
	v_sub_f32_e32 v13, v9, v11
	v_mul_f32_e32 v11, v16, v8
	v_fma_f32 v17, v16, v8, -v11
	v_fmac_f32_e32 v17, v13, v8
	v_add_f32_e32 v8, v11, v17
	v_add_f32_e32 v9, 0x3f2aaaaa, v8
	v_sub_f32_e32 v11, v8, v11
	v_sub_f32_e32 v11, v17, v11
	v_add_f32_e32 v17, 0xbf2aaaaa, v9
	v_add_f32_e32 v11, 0x31739010, v11
	v_sub_f32_e32 v17, v8, v17
	v_pk_mul_f32 v[18:19], v[10:11], v[16:17]
	v_fma_f32 v8, v16, v10, -v18
	v_pk_add_f32 v[20:21], v[10:11], v[16:17]
	v_fmac_f32_e32 v8, v16, v24
	v_mov_b32_e32 v19, v21
	v_fmac_f32_e32 v8, v13, v10
	v_ldexp_f32 v15, v10, 1
	v_pk_add_f32 v[10:11], v[18:19], v[8:9]
	v_sub_f32_e32 v9, v9, v11
	v_sub_f32_e32 v13, v10, v18
	v_mov_b32_e32 v16, v11
	v_add_f32_e32 v17, v21, v9
	v_sub_f32_e32 v13, v8, v13
	v_pk_mul_f32 v[8:9], v[10:11], v[16:17]
	v_fma_f32 v16, v10, v11, -v8
	v_fmac_f32_e32 v16, v10, v17
	v_fmac_f32_e32 v16, v13, v11
	v_add_f32_e32 v13, v8, v16
	v_pk_add_f32 v[10:11], v[12:13], v[14:15]
	v_mov_b32_e32 v9, v15
	v_mov_b32_e32 v18, v13
	;; [unrolled: 1-line block ×4, first 2 shown]
	v_pk_add_f32 v[8:9], v[18:19], v[8:9] neg_lo:[0,1] neg_hi:[0,1]
	v_ldexp_f32 v25, v24, 1
	v_pk_add_f32 v[8:9], v[16:17], v[8:9] neg_lo:[0,1] neg_hi:[0,1]
	v_add_f32_e32 v8, v25, v8
	v_add_f32_e32 v13, v8, v9
	v_pk_add_f32 v[8:9], v[10:11], v[12:13] neg_lo:[0,1] neg_hi:[0,1]
	v_pk_add_f32 v[16:17], v[10:11], v[12:13]
	v_mov_b32_e32 v15, v10
	v_mov_b32_e32 v18, v8
	v_mov_b32_e32 v19, v17
	v_pk_add_f32 v[18:19], v[14:15], v[18:19]
	v_mov_b32_e32 v12, v19
	v_mov_b32_e32 v20, v11
	v_pk_add_f32 v[10:11], v[12:13], v[10:11] neg_lo:[0,1] neg_hi:[0,1]
	v_mov_b32_e32 v18, v17
	v_mov_b32_e32 v11, v10
	;; [unrolled: 1-line block ×3, first 2 shown]
	v_pk_add_f32 v[8:9], v[14:15], v[8:9] neg_lo:[0,1] neg_hi:[0,1]
	v_mov_b32_e32 v14, v13
	v_pk_add_f32 v[10:11], v[16:17], v[10:11] neg_lo:[0,1] neg_hi:[0,1]
	v_pk_add_f32 v[16:17], v[18:19], v[20:21] neg_lo:[0,1] neg_hi:[0,1]
	;; [unrolled: 1-line block ×3, first 2 shown]
	v_mov_b32_e32 v10, v8
	v_pk_add_f32 v[10:11], v[10:11], v[14:15]
	v_mov_b32_e32 v16, v11
	v_pk_add_f32 v[16:17], v[10:11], v[16:17]
	v_pk_add_f32 v[12:13], v[12:13], v[16:17]
	v_mov_b32_e32 v9, v19
	v_mov_b32_e32 v11, v12
	;; [unrolled: 1-line block ×3, first 2 shown]
	v_pk_add_f32 v[16:17], v[10:11], v[8:9] neg_lo:[0,1] neg_hi:[0,1]
	v_sub_f32_e32 v9, v10, v16
	v_pk_add_f32 v[14:15], v[14:15], v[16:17] neg_lo:[0,1] neg_hi:[0,1]
	v_sub_f32_e32 v8, v8, v9
	v_add_f32_e32 v8, v14, v8
	v_add_f32_e32 v8, v8, v15
	;; [unrolled: 1-line block ×3, first 2 shown]
	v_sub_f32_e32 v10, v9, v12
	v_mul_f32_e32 v11, v22, v9
	v_sub_f32_e32 v8, v8, v10
	v_fma_f32 v9, v22, v9, -v11
	v_fmac_f32_e32 v9, v22, v8
	v_add_f32_e32 v8, v11, v9
	v_cmp_class_f32_e64 s[2:3], v11, s12
	v_sub_f32_e32 v10, v8, v11
	v_cndmask_b32_e64 v8, v8, v11, s[2:3]
	v_cmp_eq_f32_e64 s[2:3], s13, v8
	v_sub_f32_e32 v9, v9, v10
	v_cndmask_b32_e64 v10, 0, v6, s[2:3]
	v_sub_f32_e32 v11, v8, v10
	v_mul_f32_e32 v12, 0x3fb8aa3b, v11
	v_fma_f32 v13, v11, s23, -v12
	v_rndne_f32_e32 v14, v12
	v_fmac_f32_e32 v13, 0x32a5705f, v11
	v_sub_f32_e32 v12, v12, v14
	v_add_f32_e32 v12, v12, v13
	v_cvt_i32_f32_e32 v14, v14
	v_exp_f32_e32 v12, v12
	v_cmp_neq_f32_e64 s[2:3], |v8|, s18
	v_cndmask_b32_e64 v8, 0, v9, s[2:3]
	v_cmp_ngt_f32_e64 s[2:3], s22, v11
	v_ldexp_f32 v9, v12, v14
	v_cndmask_b32_e64 v9, 0, v9, s[2:3]
	v_cmp_nlt_f32_e64 s[2:3], s13, v11
	v_add_f32_e32 v8, v10, v8
	v_cndmask_b32_e64 v9, v4, v9, s[2:3]
	s_and_b64 s[0:1], vcc, s[0:1]
	v_fma_f32 v8, v9, v8, v9
	v_cmp_class_f32_e64 s[2:3], v9, s12
	v_cndmask_b32_e64 v23, 1.0, v0, s[0:1]
	v_cndmask_b32_e64 v8, v8, v9, s[2:3]
	v_bfi_b32 v8, s19, v8, v23
	v_cndmask_b32_e32 v9, v3, v8, vcc
	v_cmp_gt_f32_e32 vcc, 0, v0
	v_cndmask_b32_e32 v9, v8, v9, vcc
	v_cmp_eq_f32_e32 vcc, 0, v0
	v_cndmask_b32_e64 v8, v4, 0, vcc
	v_cndmask_b32_e64 v10, 0, v0, s[0:1]
	v_bfi_b32 v10, s19, v8, v10
	v_cmp_eq_f32_e64 s[0:1], 1.0, v1
	v_frexp_mant_f32_e64 v8, |v1|
	v_cndmask_b32_e64 v28, 2.0, 1.0, s[0:1]
	v_cmp_gt_f32_e64 s[0:1], s21, v8
	v_cndmask_b32_e64 v11, 1.0, 2.0, s[0:1]
	v_mul_f32_e32 v8, v8, v11
	v_add_f32_e32 v11, 1.0, v8
	v_rcp_f32_e32 v20, v11
	v_add_f32_e32 v12, -1.0, v11
	v_add_f32_e32 v13, -1.0, v8
	v_sub_f32_e32 v12, v8, v12
	v_mul_f32_e32 v8, v13, v20
	v_mul_f32_e32 v14, v11, v8
	v_fma_f32 v16, v8, v11, -v14
	v_fmac_f32_e32 v16, v8, v12
	v_add_f32_e32 v12, v14, v16
	v_sub_f32_e32 v15, v13, v12
	v_pk_add_f32 v[18:19], v[12:13], v[14:15] neg_lo:[0,1] neg_hi:[0,1]
	v_mov_b32_e32 v17, v12
	v_pk_add_f32 v[12:13], v[18:19], v[16:17] neg_lo:[0,1] neg_hi:[0,1]
	v_add_f32_e32 v11, v12, v13
	v_add_f32_e32 v11, v15, v11
	v_mul_f32_e32 v11, v20, v11
	v_add_f32_e32 v12, v8, v11
	v_sub_f32_e32 v8, v12, v8
	v_sub_f32_e32 v11, v11, v8
	v_mul_f32_e32 v8, v12, v12
	v_fma_f32 v13, v12, v12, -v8
	v_add_f32_e32 v14, v11, v11
	v_fmac_f32_e32 v13, v12, v14
	v_add_f32_e32 v14, v8, v13
	v_mov_b32_e32 v15, 0x3e91f4c4
	v_fmac_f32_e32 v15, 0x3e76c4e1, v14
	v_fma_f32 v15, v14, v15, v5
	v_sub_f32_e32 v8, v14, v8
	v_sub_f32_e32 v8, v13, v8
	v_mul_f32_e32 v13, v14, v15
	v_fma_f32 v16, v14, v15, -v13
	v_fmac_f32_e32 v16, v8, v15
	v_add_f32_e32 v15, v13, v16
	v_add_f32_e32 v17, 0x3f2aaaaa, v15
	v_sub_f32_e32 v13, v15, v13
	v_sub_f32_e32 v13, v16, v13
	v_add_f32_e32 v16, 0xbf2aaaaa, v17
	v_add_f32_e32 v13, 0x31739010, v13
	v_sub_f32_e32 v15, v15, v16
	v_pk_mul_f32 v[18:19], v[12:13], v[14:15]
	v_fma_f32 v16, v14, v12, -v18
	v_pk_add_f32 v[20:21], v[12:13], v[14:15]
	v_fmac_f32_e32 v16, v14, v11
	v_mov_b32_e32 v19, v21
	v_fmac_f32_e32 v16, v8, v12
	v_pk_add_f32 v[14:15], v[18:19], v[16:17]
	v_sub_f32_e32 v8, v14, v18
	v_sub_f32_e32 v13, v16, v8
	;; [unrolled: 1-line block ×3, first 2 shown]
	v_add_f32_e32 v20, v21, v8
	v_mov_b32_e32 v8, v15
	v_cvt_f64_f32_e64 v[18:19], |v1|
	v_pk_mul_f32 v[16:17], v[14:15], v[8:9]
	v_frexp_exp_i32_f64_e32 v8, v[18:19]
	v_subbrev_co_u32_e64 v8, s[0:1], 0, v8, s[0:1]
	v_cvt_f32_i32_e32 v8, v8
	v_fma_f32 v18, v14, v15, -v16
	v_fmac_f32_e32 v18, v14, v20
	v_fmac_f32_e32 v18, v13, v15
	v_mul_f32_e32 v14, 0x3f317218, v8
	v_fma_f32 v20, v8, s20, -v14
	v_fmac_f32_e32 v20, 0xb102e308, v8
	v_ldexp_f32 v21, v12, 1
	v_add_f32_e32 v15, v16, v18
	v_pk_add_f32 v[12:13], v[14:15], v[20:21]
	v_mov_b32_e32 v22, v15
	v_mov_b32_e32 v23, v13
	;; [unrolled: 1-line block ×3, first 2 shown]
	v_pk_add_f32 v[16:17], v[22:23], v[16:17] neg_lo:[0,1] neg_hi:[0,1]
	v_mov_b32_e32 v19, v15
	v_ldexp_f32 v8, v11, 1
	v_pk_add_f32 v[16:17], v[18:19], v[16:17] neg_lo:[0,1] neg_hi:[0,1]
	v_add_f32_e32 v8, v8, v16
	v_add_f32_e32 v15, v8, v17
	v_pk_add_f32 v[16:17], v[12:13], v[14:15] neg_lo:[0,1] neg_hi:[0,1]
	v_pk_add_f32 v[18:19], v[12:13], v[14:15]
	v_mov_b32_e32 v22, v16
	v_mov_b32_e32 v23, v19
	v_mov_b32_e32 v21, v12
	v_pk_add_f32 v[22:23], v[20:21], v[22:23]
	v_mov_b32_e32 v8, v23
	v_pk_add_f32 v[24:25], v[8:9], v[12:13] neg_lo:[0,1] neg_hi:[0,1]
	v_mov_b32_e32 v11, v24
	v_mov_b32_e32 v22, v19
	;; [unrolled: 1-line block ×4, first 2 shown]
	v_pk_add_f32 v[16:17], v[20:21], v[16:17] neg_lo:[0,1] neg_hi:[0,1]
	v_pk_add_f32 v[26:27], v[18:19], v[10:11] neg_lo:[0,1] neg_hi:[0,1]
	v_pk_add_f32 v[12:13], v[22:23], v[12:13] neg_lo:[0,1] neg_hi:[0,1]
	v_mov_b32_e32 v20, v15
	v_pk_add_f32 v[12:13], v[20:21], v[12:13] neg_lo:[0,1] neg_hi:[0,1]
	v_mov_b32_e32 v26, v16
	v_pk_add_f32 v[14:15], v[26:27], v[12:13]
	v_mov_b32_e32 v18, v15
	v_pk_add_f32 v[18:19], v[14:15], v[18:19]
	v_pk_add_f32 v[20:21], v[8:9], v[18:19]
	v_mov_b32_e32 v17, v23
	v_mov_b32_e32 v15, v20
	v_pk_add_f32 v[22:23], v[14:15], v[16:17] neg_lo:[0,1] neg_hi:[0,1]
	v_mov_b32_e32 v13, v18
	v_sub_f32_e32 v8, v14, v22
	v_pk_add_f32 v[12:13], v[12:13], v[22:23] neg_lo:[0,1] neg_hi:[0,1]
	v_sub_f32_e32 v8, v16, v8
	v_add_f32_e32 v8, v12, v8
	v_add_f32_e32 v8, v8, v13
	v_add_f32_e32 v11, v20, v8
	v_sub_f32_e32 v12, v11, v20
	v_sub_f32_e32 v8, v8, v12
	v_mul_f32_e32 v12, v28, v11
	v_fma_f32 v11, v28, v11, -v12
	v_fmac_f32_e32 v11, v28, v8
	v_add_f32_e32 v8, v12, v11
	v_cmp_class_f32_e64 s[0:1], v12, s12
	v_sub_f32_e32 v13, v8, v12
	v_cndmask_b32_e64 v8, v8, v12, s[0:1]
	v_cmp_eq_f32_e64 s[0:1], s13, v8
	v_cndmask_b32_e64 v12, 0, v6, s[0:1]
	v_sub_f32_e32 v11, v11, v13
	v_sub_f32_e32 v13, v8, v12
	v_mul_f32_e32 v14, 0x3fb8aa3b, v13
	v_fma_f32 v15, v13, s23, -v14
	v_rndne_f32_e32 v16, v14
	v_fmac_f32_e32 v15, 0x32a5705f, v13
	v_sub_f32_e32 v14, v14, v16
	v_add_f32_e32 v14, v14, v15
	v_exp_f32_e32 v14, v14
	v_cvt_i32_f32_e32 v15, v16
	v_cmp_neq_f32_e64 s[0:1], |v8|, s18
	v_cndmask_b32_e64 v8, 0, v11, s[0:1]
	v_cmp_ngt_f32_e64 s[0:1], s22, v13
	v_ldexp_f32 v11, v14, v15
	v_cndmask_b32_e64 v11, 0, v11, s[0:1]
	v_cmp_nlt_f32_e64 s[0:1], s13, v13
	v_add_f32_e32 v8, v12, v8
	v_cndmask_b32_e64 v11, v4, v11, s[0:1]
	v_fma_f32 v8, v11, v8, v11
	v_cmp_class_f32_e64 s[0:1], v11, s12
	v_cndmask_b32_e64 v8, v8, v11, s[0:1]
	v_trunc_f32_e32 v11, v28
	v_cmp_eq_f32_e64 s[0:1], v11, v28
	v_mul_f32_e32 v11, 0.5, v28
	v_trunc_f32_e32 v12, v11
	v_cmp_neq_f32_e64 s[2:3], v12, v11
	s_and_b64 s[2:3], s[0:1], s[2:3]
	v_cndmask_b32_e64 v11, 1.0, v1, s[2:3]
	v_bfi_b32 v8, s19, v8, v11
	v_cmp_class_f32_e64 s[4:5], v0, s12
	v_cndmask_b32_e64 v11, v3, v8, s[0:1]
	v_cmp_gt_f32_e64 s[0:1], 0, v1
	s_or_b64 vcc, vcc, s[4:5]
	v_cndmask_b32_e64 v28, v8, v11, s[0:1]
	v_cmp_class_f32_e64 s[4:5], v1, s12
	v_cmp_eq_f32_e64 s[0:1], 0, v1
	v_cndmask_b32_e64 v8, v4, 0, s[0:1]
	v_cndmask_b32_e64 v11, 0, v1, s[2:3]
	s_or_b64 s[2:3], s[0:1], s[4:5]
	s_sub_i32 s0, s24, s6
	s_mul_i32 s0, s0, 12
	s_ashr_i32 s1, s0, 31
	s_lshl_b64 s[0:1], s[0:1], 2
	s_add_u32 s0, s8, s0
	s_addc_u32 s1, s9, s1
	v_bfi_b32 v29, s19, v8, v11
	global_load_dword v8, v2, s[0:1] offset:12
	v_cndmask_b32_e32 v9, v9, v10, vcc
	v_cmp_o_f32_e32 vcc, v0, v0
	v_cndmask_b32_e32 v0, v3, v9, vcc
	v_cndmask_b32_e64 v9, v28, v29, s[2:3]
	v_cmp_o_f32_e32 vcc, v1, v1
	v_cndmask_b32_e32 v9, v3, v9, vcc
	v_add_f32_e32 v0, v0, v9
	v_mul_f32_e32 v9, 0x4f800000, v0
	s_waitcnt vmcnt(0)
	v_cmp_eq_f32_e64 s[0:1], 1.0, v8
	v_frexp_mant_f32_e64 v11, |v8|
	v_cndmask_b32_e64 v30, 2.0, 1.0, s[0:1]
	v_cmp_gt_f32_e64 s[0:1], s21, v11
	v_cndmask_b32_e64 v12, 1.0, 2.0, s[0:1]
	v_mul_f32_e32 v11, v11, v12
	v_add_f32_e32 v12, 1.0, v11
	v_rcp_f32_e32 v20, v12
	v_add_f32_e32 v13, -1.0, v12
	v_sub_f32_e32 v15, v11, v13
	v_add_f32_e32 v13, -1.0, v11
	v_mul_f32_e32 v11, v13, v20
	v_mul_f32_e32 v14, v12, v11
	v_fma_f32 v16, v11, v12, -v14
	v_fmac_f32_e32 v16, v11, v15
	v_add_f32_e32 v12, v14, v16
	v_sub_f32_e32 v15, v13, v12
	v_pk_add_f32 v[18:19], v[12:13], v[14:15] neg_lo:[0,1] neg_hi:[0,1]
	v_mov_b32_e32 v17, v12
	v_pk_add_f32 v[12:13], v[18:19], v[16:17] neg_lo:[0,1] neg_hi:[0,1]
	v_add_f32_e32 v12, v12, v13
	v_add_f32_e32 v12, v15, v12
	v_mul_f32_e32 v13, v20, v12
	v_add_f32_e32 v12, v11, v13
	v_sub_f32_e32 v11, v12, v11
	v_sub_f32_e32 v11, v13, v11
	v_mul_f32_e32 v13, v12, v12
	v_fma_f32 v15, v12, v12, -v13
	v_add_f32_e32 v14, v11, v11
	v_fmac_f32_e32 v15, v12, v14
	v_add_f32_e32 v14, v13, v15
	v_mov_b32_e32 v16, 0x3e91f4c4
	v_fmac_f32_e32 v16, 0x3e76c4e1, v14
	v_fma_f32 v16, v14, v16, v5
	v_sub_f32_e32 v13, v14, v13
	v_sub_f32_e32 v22, v15, v13
	v_mul_f32_e32 v13, v14, v16
	v_fma_f32 v15, v14, v16, -v13
	v_fmac_f32_e32 v15, v22, v16
	v_add_f32_e32 v16, v13, v15
	v_add_f32_e32 v17, 0x3f2aaaaa, v16
	v_sub_f32_e32 v13, v16, v13
	v_sub_f32_e32 v13, v15, v13
	v_add_f32_e32 v15, 0xbf2aaaaa, v17
	v_add_f32_e32 v13, 0x31739010, v13
	v_sub_f32_e32 v15, v16, v15
	v_pk_mul_f32 v[18:19], v[12:13], v[14:15]
	v_fma_f32 v16, v14, v12, -v18
	v_pk_add_f32 v[20:21], v[12:13], v[14:15]
	v_fmac_f32_e32 v16, v14, v11
	v_mov_b32_e32 v19, v21
	v_fmac_f32_e32 v16, v22, v12
	v_pk_add_f32 v[14:15], v[18:19], v[16:17]
	v_sub_f32_e32 v13, v14, v18
	v_sub_f32_e32 v13, v16, v13
	;; [unrolled: 1-line block ×3, first 2 shown]
	v_add_f32_e32 v20, v21, v16
	v_mov_b32_e32 v16, v15
	v_pk_mul_f32 v[16:17], v[14:15], v[16:17]
	v_cvt_f64_f32_e64 v[18:19], |v8|
	v_frexp_exp_i32_f64_e32 v17, v[18:19]
	v_subbrev_co_u32_e64 v17, s[0:1], 0, v17, s[0:1]
	v_cvt_f32_i32_e32 v17, v17
	v_fma_f32 v18, v14, v15, -v16
	v_fmac_f32_e32 v18, v14, v20
	v_fmac_f32_e32 v18, v13, v15
	v_mul_f32_e32 v14, 0x3f317218, v17
	v_fma_f32 v20, v17, s20, -v14
	v_fmac_f32_e32 v20, 0xb102e308, v17
	v_ldexp_f32 v21, v12, 1
	v_add_f32_e32 v15, v16, v18
	v_pk_add_f32 v[12:13], v[14:15], v[20:21]
	v_mov_b32_e32 v22, v15
	v_mov_b32_e32 v23, v13
	;; [unrolled: 1-line block ×3, first 2 shown]
	v_pk_add_f32 v[16:17], v[22:23], v[16:17] neg_lo:[0,1] neg_hi:[0,1]
	v_mov_b32_e32 v19, v15
	v_ldexp_f32 v11, v11, 1
	v_pk_add_f32 v[16:17], v[18:19], v[16:17] neg_lo:[0,1] neg_hi:[0,1]
	v_add_f32_e32 v11, v11, v16
	v_add_f32_e32 v15, v11, v17
	v_pk_add_f32 v[16:17], v[12:13], v[14:15] neg_lo:[0,1] neg_hi:[0,1]
	v_pk_add_f32 v[18:19], v[12:13], v[14:15]
	v_mov_b32_e32 v22, v16
	v_mov_b32_e32 v23, v19
	;; [unrolled: 1-line block ×3, first 2 shown]
	v_pk_add_f32 v[22:23], v[20:21], v[22:23]
	v_mov_b32_e32 v14, v23
	v_pk_add_f32 v[24:25], v[14:15], v[12:13] neg_lo:[0,1] neg_hi:[0,1]
	v_mov_b32_e32 v11, v24
	v_mov_b32_e32 v22, v19
	;; [unrolled: 1-line block ×4, first 2 shown]
	v_pk_add_f32 v[16:17], v[20:21], v[16:17] neg_lo:[0,1] neg_hi:[0,1]
	v_pk_add_f32 v[26:27], v[18:19], v[10:11] neg_lo:[0,1] neg_hi:[0,1]
	;; [unrolled: 1-line block ×3, first 2 shown]
	v_mov_b32_e32 v20, v15
	v_pk_add_f32 v[12:13], v[20:21], v[12:13] neg_lo:[0,1] neg_hi:[0,1]
	v_mov_b32_e32 v26, v16
	v_pk_add_f32 v[18:19], v[26:27], v[12:13]
	v_mov_b32_e32 v20, v19
	v_pk_add_f32 v[20:21], v[18:19], v[20:21]
	v_pk_add_f32 v[14:15], v[14:15], v[20:21]
	v_mov_b32_e32 v17, v23
	v_mov_b32_e32 v19, v14
	v_pk_add_f32 v[22:23], v[18:19], v[16:17] neg_lo:[0,1] neg_hi:[0,1]
	v_mov_b32_e32 v13, v20
	v_sub_f32_e32 v11, v18, v22
	v_pk_add_f32 v[12:13], v[12:13], v[22:23] neg_lo:[0,1] neg_hi:[0,1]
	v_sub_f32_e32 v11, v16, v11
	v_add_f32_e32 v11, v12, v11
	v_add_f32_e32 v11, v11, v13
	;; [unrolled: 1-line block ×3, first 2 shown]
	v_sub_f32_e32 v13, v12, v14
	v_sub_f32_e32 v11, v11, v13
	v_mul_f32_e32 v13, v30, v12
	v_fma_f32 v12, v30, v12, -v13
	v_fmac_f32_e32 v12, v30, v11
	v_add_f32_e32 v11, v13, v12
	v_cmp_class_f32_e64 s[0:1], v13, s12
	v_sub_f32_e32 v14, v11, v13
	v_cndmask_b32_e64 v11, v11, v13, s[0:1]
	v_cmp_eq_f32_e64 s[0:1], s13, v11
	v_cndmask_b32_e64 v13, 0, v6, s[0:1]
	v_sub_f32_e32 v12, v12, v14
	v_sub_f32_e32 v14, v11, v13
	v_mul_f32_e32 v15, 0x3fb8aa3b, v14
	v_fma_f32 v16, v14, s23, -v15
	v_rndne_f32_e32 v17, v15
	v_fmac_f32_e32 v16, 0x32a5705f, v14
	v_sub_f32_e32 v15, v15, v17
	v_add_f32_e32 v15, v15, v16
	v_exp_f32_e32 v15, v15
	v_cvt_i32_f32_e32 v16, v17
	v_cmp_neq_f32_e64 s[0:1], |v11|, s18
	v_cndmask_b32_e64 v11, 0, v12, s[0:1]
	v_cmp_ngt_f32_e64 s[0:1], s22, v14
	v_ldexp_f32 v12, v15, v16
	v_cndmask_b32_e64 v12, 0, v12, s[0:1]
	v_cmp_nlt_f32_e64 s[0:1], s13, v14
	v_add_f32_e32 v11, v13, v11
	v_cndmask_b32_e64 v12, v4, v12, s[0:1]
	v_fma_f32 v11, v12, v11, v12
	v_cmp_class_f32_e64 s[0:1], v12, s12
	v_cndmask_b32_e64 v11, v11, v12, s[0:1]
	v_trunc_f32_e32 v12, v30
	v_cmp_eq_f32_e64 s[0:1], v12, v30
	v_mul_f32_e32 v12, 0.5, v30
	v_trunc_f32_e32 v13, v12
	v_cmp_neq_f32_e64 s[4:5], v13, v12
	s_and_b64 s[4:5], s[0:1], s[4:5]
	v_cndmask_b32_e64 v12, 1.0, v8, s[4:5]
	v_bfi_b32 v11, s19, v11, v12
	v_cndmask_b32_e64 v12, v3, v11, s[0:1]
	v_cmp_gt_f32_e64 s[0:1], 0, v8
	v_cndmask_b32_e64 v13, 0, v8, s[4:5]
	s_mul_i32 s4, s24, 12
	v_cndmask_b32_e64 v12, v11, v12, s[0:1]
	v_cmp_class_f32_e64 s[26:27], v8, s12
	v_cmp_eq_f32_e64 s[0:1], 0, v8
	s_ashr_i32 s5, s4, 31
	v_cndmask_b32_e64 v11, v4, 0, s[0:1]
	s_or_b64 s[0:1], s[0:1], s[26:27]
	s_lshl_b64 s[4:5], s[4:5], 2
	s_add_u32 s4, s8, s4
	s_addc_u32 s5, s9, s5
	v_bfi_b32 v13, s19, v11, v13
	global_load_dword v11, v2, s[4:5] offset:16
	s_mov_b32 s24, 0xf800000
	v_cmp_gt_f32_e32 vcc, s24, v0
	v_cndmask_b32_e32 v9, v0, v9, vcc
	v_sqrt_f32_e32 v0, v9
	v_mov_b32_e32 v10, 0x3e91f4c4
	v_add_u32_e32 v14, -1, v0
	v_fma_f32 v15, -v14, v0, v9
	v_cmp_ge_f32_e64 s[2:3], 0, v15
	v_add_u32_e32 v15, 1, v0
	v_cndmask_b32_e64 v14, v0, v14, s[2:3]
	v_fma_f32 v0, -v15, v0, v9
	v_cmp_lt_f32_e64 s[2:3], 0, v0
	v_cndmask_b32_e64 v0, v14, v15, s[2:3]
	v_mul_f32_e32 v14, 0x37800000, v0
	v_cndmask_b32_e32 v14, v0, v14, vcc
	v_mov_b32_e32 v0, 0x260
	v_cmp_class_f32_e32 vcc, v9, v0
	v_cndmask_b32_e32 v9, v14, v9, vcc
	v_mul_f32_e32 v7, v7, v9
	v_cmp_lt_f32_e32 vcc, 0, v1
	v_cndmask_b32_e64 v1, v7, -v7, vcc
	global_store_dword v2, v1, s[8:9] offset:4
	s_waitcnt vmcnt(1)
	v_cmp_eq_f32_e32 vcc, 1.0, v11
	v_frexp_mant_f32_e64 v1, |v11|
	v_cndmask_b32_e64 v7, 2.0, 1.0, vcc
	v_cmp_gt_f32_e32 vcc, s21, v1
	v_cndmask_b32_e64 v9, 1.0, 2.0, vcc
	v_mul_f32_e32 v1, v1, v9
	v_add_f32_e32 v9, 1.0, v1
	v_rcp_f32_e32 v22, v9
	v_add_f32_e32 v14, -1.0, v9
	v_add_f32_e32 v15, -1.0, v1
	v_sub_f32_e32 v14, v1, v14
	v_mul_f32_e32 v1, v15, v22
	v_mul_f32_e32 v16, v9, v1
	v_fma_f32 v18, v1, v9, -v16
	v_fmac_f32_e32 v18, v1, v14
	v_add_f32_e32 v14, v16, v18
	v_sub_f32_e32 v17, v15, v14
	v_pk_add_f32 v[20:21], v[14:15], v[16:17] neg_lo:[0,1] neg_hi:[0,1]
	v_mov_b32_e32 v19, v14
	v_pk_add_f32 v[14:15], v[20:21], v[18:19] neg_lo:[0,1] neg_hi:[0,1]
	v_add_f32_e32 v9, v14, v15
	v_add_f32_e32 v9, v17, v9
	v_mul_f32_e32 v9, v22, v9
	v_add_f32_e32 v14, v1, v9
	v_sub_f32_e32 v1, v14, v1
	v_sub_f32_e32 v1, v9, v1
	v_mul_f32_e32 v9, v14, v14
	v_fma_f32 v15, v14, v14, -v9
	v_add_f32_e32 v16, v1, v1
	v_fmac_f32_e32 v15, v14, v16
	v_add_f32_e32 v16, v9, v15
	v_fmac_f32_e32 v10, 0x3e76c4e1, v16
	v_fmac_f32_e32 v5, v16, v10
	v_sub_f32_e32 v9, v16, v9
	v_mul_f32_e32 v10, v16, v5
	v_sub_f32_e32 v9, v15, v9
	v_fma_f32 v15, v16, v5, -v10
	v_fmac_f32_e32 v15, v9, v5
	v_add_f32_e32 v5, v10, v15
	v_sub_f32_e32 v10, v5, v10
	v_add_f32_e32 v19, 0x3f2aaaaa, v5
	v_sub_f32_e32 v10, v15, v10
	v_add_f32_e32 v15, 0x31739010, v10
	v_add_f32_e32 v10, 0xbf2aaaaa, v19
	v_sub_f32_e32 v17, v5, v10
	v_pk_mul_f32 v[20:21], v[14:15], v[16:17]
	v_fma_f32 v18, v16, v14, -v20
	v_pk_add_f32 v[22:23], v[14:15], v[16:17]
	v_fmac_f32_e32 v18, v16, v1
	v_mov_b32_e32 v21, v23
	v_fmac_f32_e32 v18, v9, v14
	v_pk_add_f32 v[16:17], v[20:21], v[18:19]
	v_sub_f32_e32 v5, v16, v20
	v_mov_b32_e32 v10, v17
	v_cvt_f64_f32_e64 v[20:21], |v11|
	v_sub_f32_e32 v5, v18, v5
	v_sub_f32_e32 v9, v19, v17
	v_pk_mul_f32 v[18:19], v[16:17], v[10:11]
	v_frexp_exp_i32_f64_e32 v10, v[20:21]
	v_subbrev_co_u32_e32 v10, vcc, 0, v10, vcc
	v_cvt_f32_i32_e32 v10, v10
	v_add_f32_e32 v9, v23, v9
	v_fma_f32 v20, v16, v17, -v18
	v_fmac_f32_e32 v20, v16, v9
	v_mul_f32_e32 v16, 0x3f317218, v10
	v_fmac_f32_e32 v20, v5, v17
	v_fma_f32 v22, v10, s20, -v16
	v_fmac_f32_e32 v22, 0xb102e308, v10
	v_ldexp_f32 v23, v14, 1
	v_add_f32_e32 v17, v18, v20
	v_pk_add_f32 v[14:15], v[16:17], v[22:23]
	v_mov_b32_e32 v24, v17
	v_mov_b32_e32 v25, v15
	;; [unrolled: 1-line block ×3, first 2 shown]
	v_pk_add_f32 v[18:19], v[24:25], v[18:19] neg_lo:[0,1] neg_hi:[0,1]
	v_mov_b32_e32 v21, v17
	v_ldexp_f32 v1, v1, 1
	v_pk_add_f32 v[18:19], v[20:21], v[18:19] neg_lo:[0,1] neg_hi:[0,1]
	v_add_f32_e32 v1, v1, v18
	v_add_f32_e32 v17, v1, v19
	v_pk_add_f32 v[18:19], v[14:15], v[16:17] neg_lo:[0,1] neg_hi:[0,1]
	v_pk_add_f32 v[20:21], v[14:15], v[16:17]
	v_mov_b32_e32 v24, v18
	v_mov_b32_e32 v25, v21
	;; [unrolled: 1-line block ×3, first 2 shown]
	v_pk_add_f32 v[24:25], v[22:23], v[24:25]
	v_mov_b32_e32 v10, v25
	v_pk_add_f32 v[26:27], v[10:11], v[14:15] neg_lo:[0,1] neg_hi:[0,1]
	v_mov_b32_e32 v1, v26
	v_mov_b32_e32 v24, v21
	;; [unrolled: 1-line block ×4, first 2 shown]
	v_pk_add_f32 v[18:19], v[22:23], v[18:19] neg_lo:[0,1] neg_hi:[0,1]
	v_pk_add_f32 v[28:29], v[20:21], v[0:1] neg_lo:[0,1] neg_hi:[0,1]
	;; [unrolled: 1-line block ×3, first 2 shown]
	v_mov_b32_e32 v22, v17
	v_pk_add_f32 v[14:15], v[22:23], v[14:15] neg_lo:[0,1] neg_hi:[0,1]
	v_mov_b32_e32 v28, v18
	v_pk_add_f32 v[16:17], v[28:29], v[14:15]
	v_mov_b32_e32 v20, v17
	v_pk_add_f32 v[20:21], v[16:17], v[20:21]
	v_pk_add_f32 v[22:23], v[10:11], v[20:21]
	v_mov_b32_e32 v19, v25
	v_mov_b32_e32 v17, v22
	v_pk_add_f32 v[24:25], v[16:17], v[18:19] neg_lo:[0,1] neg_hi:[0,1]
	v_mov_b32_e32 v15, v20
	v_sub_f32_e32 v1, v16, v24
	v_pk_add_f32 v[14:15], v[14:15], v[24:25] neg_lo:[0,1] neg_hi:[0,1]
	v_sub_f32_e32 v1, v18, v1
	v_add_f32_e32 v1, v14, v1
	v_add_f32_e32 v1, v1, v15
	;; [unrolled: 1-line block ×3, first 2 shown]
	v_sub_f32_e32 v9, v5, v22
	v_sub_f32_e32 v1, v1, v9
	v_mul_f32_e32 v9, v7, v5
	v_fma_f32 v5, v7, v5, -v9
	v_fmac_f32_e32 v5, v7, v1
	v_add_f32_e32 v1, v9, v5
	v_cmp_class_f32_e64 vcc, v9, s12
	v_sub_f32_e32 v10, v1, v9
	v_cndmask_b32_e32 v1, v1, v9, vcc
	v_cmp_eq_f32_e32 vcc, s13, v1
	v_cndmask_b32_e32 v6, 0, v6, vcc
	v_sub_f32_e32 v9, v1, v6
	v_sub_f32_e32 v5, v5, v10
	v_mul_f32_e32 v10, 0x3fb8aa3b, v9
	v_fma_f32 v14, v9, s23, -v10
	v_rndne_f32_e32 v15, v10
	v_fmac_f32_e32 v14, 0x32a5705f, v9
	v_sub_f32_e32 v10, v10, v15
	v_add_f32_e32 v10, v10, v14
	v_exp_f32_e32 v10, v10
	v_cvt_i32_f32_e32 v14, v15
	v_cmp_neq_f32_e64 vcc, |v1|, s18
	v_cndmask_b32_e32 v1, 0, v5, vcc
	v_cmp_ngt_f32_e32 vcc, s22, v9
	v_ldexp_f32 v5, v10, v14
	v_cndmask_b32_e32 v5, 0, v5, vcc
	v_cmp_nlt_f32_e32 vcc, s13, v9
	v_add_f32_e32 v1, v6, v1
	v_cndmask_b32_e32 v5, v4, v5, vcc
	v_fma_f32 v1, v5, v1, v5
	v_cmp_class_f32_e64 vcc, v5, s12
	v_cndmask_b32_e32 v1, v1, v5, vcc
	v_trunc_f32_e32 v5, v7
	v_cmp_eq_f32_e32 vcc, v5, v7
	v_mul_f32_e32 v5, 0.5, v7
	v_trunc_f32_e32 v6, v5
	v_cmp_neq_f32_e64 s[2:3], v6, v5
	s_and_b64 s[2:3], vcc, s[2:3]
	v_cndmask_b32_e64 v5, 1.0, v11, s[2:3]
	v_bfi_b32 v1, s19, v1, v5
	v_cndmask_b32_e32 v5, v3, v1, vcc
	v_cmp_gt_f32_e32 vcc, 0, v11
	v_cndmask_b32_e32 v1, v1, v5, vcc
	v_cmp_class_f32_e64 s[12:13], v11, s12
	v_cmp_eq_f32_e32 vcc, 0, v11
	v_cndmask_b32_e64 v5, 0, v11, s[2:3]
	s_ashr_i32 s3, s7, 31
	s_mov_b32 s2, s7
	v_cndmask_b32_e64 v4, v4, 0, vcc
	s_or_b64 vcc, vcc, s[12:13]
	s_lshl_b64 s[2:3], s[2:3], 2
	s_add_u32 s2, s10, s2
	s_addc_u32 s3, s11, s3
	v_bfi_b32 v4, s19, v4, v5
	global_load_dword v5, v2, s[2:3]
	v_cndmask_b32_e64 v6, v12, v13, s[0:1]
	v_cmp_o_f32_e64 s[0:1], v8, v8
	v_cndmask_b32_e32 v1, v1, v4, vcc
	v_cmp_o_f32_e32 vcc, v11, v11
	v_cndmask_b32_e64 v6, v3, v6, s[0:1]
	v_cndmask_b32_e32 v1, v3, v1, vcc
	v_add_f32_e32 v1, v6, v1
	v_mul_f32_e32 v3, 0x4f800000, v1
	v_cmp_gt_f32_e32 vcc, s24, v1
	v_cndmask_b32_e32 v1, v1, v3, vcc
	v_sqrt_f32_e32 v3, v1
	v_add_u32_e32 v4, -1, v3
	v_fma_f32 v6, -v4, v3, v1
	v_cmp_ge_f32_e64 s[0:1], 0, v6
	v_add_u32_e32 v6, 1, v3
	v_cndmask_b32_e64 v4, v3, v4, s[0:1]
	v_fma_f32 v3, -v6, v3, v1
	v_cmp_lt_f32_e64 s[0:1], 0, v3
	v_cndmask_b32_e64 v3, v4, v6, s[0:1]
	v_mul_f32_e32 v4, 0x37800000, v3
	v_cndmask_b32_e32 v3, v3, v4, vcc
	v_cmp_class_f32_e32 vcc, v1, v0
	v_cndmask_b32_e32 v0, v3, v1, vcc
	v_cmp_nlt_f32_e32 vcc, 0, v11
	s_waitcnt vmcnt(0)
	v_mul_f32_e32 v0, v5, v0
	global_store_dword v2, v0, s[4:5] offset:4
	s_cbranch_vccnz .LBB1_20
; %bb.19:
	v_xor_b32_e32 v0, 0x80000000, v0
	global_store_dword v2, v0, s[4:5] offset:4
.LBB1_20:
	s_cmp_gt_i32 s16, s17
	s_cbranch_scc1 .LBB1_25
; %bb.21:
	s_mul_i32 s0, s16, 12
	s_ashr_i32 s1, s0, 31
	s_lshl_b64 s[0:1], s[0:1], 2
	s_add_u32 s4, s8, s0
	s_addc_u32 s5, s9, s1
	v_mov_b32_e32 v0, 0
	global_load_dword v5, v0, s[4:5] offset:12
	global_load_dword v7, v0, s[14:15] offset:4
	s_mov_b32 s16, 0x3f2aaaab
	s_mov_b32 s23, 0x3f317218
	v_mov_b32_e32 v6, 0x3e91f4c4
	v_mov_b32_e32 v1, 0x3ecccdef
	s_movk_i32 s17, 0x204
	s_mov_b32 s18, 0x42b17218
	v_mov_b32_e32 v3, 0x37000000
	s_mov_b32 s20, 0x3fb8aa3b
	s_mov_b32 s19, 0x7f800000
	;; [unrolled: 1-line block ×3, first 2 shown]
	v_mov_b32_e32 v4, 0x7f800000
	s_brev_b32 s22, -2
	v_mov_b32_e32 v2, 0x7fc00000
	s_waitcnt vmcnt(1)
	v_cmp_eq_f32_e32 vcc, 1.0, v5
	v_frexp_mant_f32_e64 v10, |v5|
	v_cndmask_b32_e64 v22, 2.0, 1.0, vcc
	v_cmp_gt_f32_e32 vcc, s16, v10
	v_cndmask_b32_e64 v11, 1.0, 2.0, vcc
	v_mul_f32_e32 v10, v10, v11
	v_cvt_f64_f32_e64 v[8:9], |v5|
	v_add_f32_e32 v13, 1.0, v10
	v_frexp_exp_i32_f64_e32 v8, v[8:9]
	v_rcp_f32_e32 v18, v13
	v_subbrev_co_u32_e32 v8, vcc, 0, v8, vcc
	v_trunc_f32_e32 v9, v22
	v_cvt_f32_i32_e32 v8, v8
	v_mul_f32_e32 v12, 0.5, v22
	v_cmp_eq_f32_e32 vcc, v9, v22
	v_add_f32_e32 v9, -1.0, v10
	v_trunc_f32_e32 v11, v12
	v_mul_f32_e32 v19, v9, v18
	v_cmp_neq_f32_e64 s[0:1], v11, v12
	v_add_f32_e32 v11, -1.0, v13
	v_mul_f32_e32 v14, v13, v19
	v_sub_f32_e32 v11, v10, v11
	v_mul_f32_e32 v10, 0x3f317218, v8
	v_fma_f32 v16, v19, v13, -v14
	v_fma_f32 v12, v8, s23, -v10
	v_fmac_f32_e32 v16, v19, v11
	v_fmac_f32_e32 v12, 0xb102e308, v8
	v_add_f32_e32 v8, v14, v16
	v_sub_f32_e32 v15, v9, v8
	v_mov_b32_e32 v17, v8
	v_pk_add_f32 v[8:9], v[8:9], v[14:15] neg_lo:[0,1] neg_hi:[0,1]
	v_pk_add_f32 v[8:9], v[8:9], v[16:17] neg_lo:[0,1] neg_hi:[0,1]
	v_add_f32_e32 v8, v8, v9
	v_add_f32_e32 v8, v15, v8
	v_mul_f32_e32 v9, v18, v8
	v_add_f32_e32 v8, v19, v9
	v_sub_f32_e32 v11, v8, v19
	v_mul_f32_e32 v15, v8, v8
	v_sub_f32_e32 v11, v9, v11
	v_fma_f32 v9, v8, v8, -v15
	v_add_f32_e32 v14, v11, v11
	v_fmac_f32_e32 v9, v8, v14
	v_add_f32_e32 v14, v15, v9
	v_fmac_f32_e32 v6, 0x3e76c4e1, v14
	v_sub_f32_e32 v15, v14, v15
	v_fma_f32 v6, v14, v6, v1
	v_sub_f32_e32 v25, v9, v15
	v_mul_f32_e32 v9, v14, v6
	v_fma_f32 v15, v14, v6, -v9
	v_fmac_f32_e32 v15, v25, v6
	v_add_f32_e32 v6, v9, v15
	v_add_f32_e32 v17, 0x3f2aaaaa, v6
	v_sub_f32_e32 v9, v6, v9
	v_sub_f32_e32 v9, v15, v9
	v_add_f32_e32 v15, 0xbf2aaaaa, v17
	v_add_f32_e32 v9, 0x31739010, v9
	v_sub_f32_e32 v15, v6, v15
	v_pk_mul_f32 v[18:19], v[8:9], v[14:15]
	v_fma_f32 v16, v14, v8, -v18
	v_pk_add_f32 v[20:21], v[8:9], v[14:15]
	v_fmac_f32_e32 v16, v14, v11
	v_mov_b32_e32 v19, v21
	v_fmac_f32_e32 v16, v25, v8
	v_ldexp_f32 v13, v8, 1
	v_pk_add_f32 v[8:9], v[18:19], v[16:17]
	v_sub_f32_e32 v14, v17, v9
	v_mov_b32_e32 v6, v9
	v_ldexp_f32 v24, v11, 1
	v_sub_f32_e32 v11, v8, v18
	v_add_f32_e32 v17, v21, v14
	s_waitcnt vmcnt(0)
	v_pk_mul_f32 v[14:15], v[8:9], v[6:7]
	v_sub_f32_e32 v11, v16, v11
	v_fma_f32 v16, v8, v9, -v14
	v_fmac_f32_e32 v16, v8, v17
	v_fmac_f32_e32 v16, v11, v9
	v_add_f32_e32 v11, v14, v16
	v_pk_add_f32 v[8:9], v[10:11], v[12:13]
	v_mov_b32_e32 v15, v13
	v_mov_b32_e32 v18, v11
	v_mov_b32_e32 v19, v9
	v_mov_b32_e32 v17, v11
	v_pk_add_f32 v[14:15], v[18:19], v[14:15] neg_lo:[0,1] neg_hi:[0,1]
	v_pk_add_f32 v[14:15], v[16:17], v[14:15] neg_lo:[0,1] neg_hi:[0,1]
	v_add_f32_e32 v6, v24, v14
	v_add_f32_e32 v11, v6, v15
	v_pk_add_f32 v[14:15], v[8:9], v[10:11] neg_lo:[0,1] neg_hi:[0,1]
	v_pk_add_f32 v[16:17], v[8:9], v[10:11]
	v_mov_b32_e32 v13, v8
	v_mov_b32_e32 v18, v14
	;; [unrolled: 1-line block ×3, first 2 shown]
	v_pk_add_f32 v[18:19], v[12:13], v[18:19]
	v_mov_b32_e32 v6, v19
	v_mov_b32_e32 v20, v9
	v_pk_add_f32 v[8:9], v[6:7], v[8:9] neg_lo:[0,1] neg_hi:[0,1]
	v_mov_b32_e32 v18, v17
	v_mov_b32_e32 v9, v8
	;; [unrolled: 1-line block ×3, first 2 shown]
	v_pk_add_f32 v[14:15], v[12:13], v[14:15] neg_lo:[0,1] neg_hi:[0,1]
	v_mov_b32_e32 v12, v11
	v_pk_add_f32 v[8:9], v[16:17], v[8:9] neg_lo:[0,1] neg_hi:[0,1]
	v_pk_add_f32 v[10:11], v[18:19], v[20:21] neg_lo:[0,1] neg_hi:[0,1]
	;; [unrolled: 1-line block ×3, first 2 shown]
	v_mov_b32_e32 v8, v14
	v_pk_add_f32 v[8:9], v[8:9], v[10:11]
	v_mov_b32_e32 v12, v9
	v_pk_add_f32 v[12:13], v[8:9], v[12:13]
	v_pk_add_f32 v[16:17], v[6:7], v[12:13]
	v_mov_b32_e32 v15, v19
	v_mov_b32_e32 v9, v16
	;; [unrolled: 1-line block ×3, first 2 shown]
	v_pk_add_f32 v[12:13], v[8:9], v[14:15] neg_lo:[0,1] neg_hi:[0,1]
	v_sub_f32_e32 v6, v8, v12
	v_pk_add_f32 v[10:11], v[10:11], v[12:13] neg_lo:[0,1] neg_hi:[0,1]
	v_sub_f32_e32 v6, v14, v6
	v_add_f32_e32 v6, v10, v6
	v_add_f32_e32 v6, v6, v11
	;; [unrolled: 1-line block ×3, first 2 shown]
	v_sub_f32_e32 v9, v8, v16
	v_mul_f32_e32 v10, v22, v8
	v_sub_f32_e32 v6, v6, v9
	v_fma_f32 v8, v22, v8, -v10
	v_fmac_f32_e32 v8, v22, v6
	v_add_f32_e32 v6, v10, v8
	v_cmp_class_f32_e64 s[2:3], v10, s17
	v_sub_f32_e32 v9, v6, v10
	v_cndmask_b32_e64 v6, v6, v10, s[2:3]
	v_cmp_eq_f32_e64 s[2:3], s18, v6
	v_sub_f32_e32 v8, v8, v9
	v_cndmask_b32_e64 v9, 0, v3, s[2:3]
	v_sub_f32_e32 v10, v6, v9
	v_mul_f32_e32 v11, 0x3fb8aa3b, v10
	v_fma_f32 v12, v10, s20, -v11
	v_rndne_f32_e32 v13, v11
	v_fmac_f32_e32 v12, 0x32a5705f, v10
	v_sub_f32_e32 v11, v11, v13
	v_add_f32_e32 v11, v11, v12
	v_cvt_i32_f32_e32 v13, v13
	v_exp_f32_e32 v11, v11
	v_cmp_neq_f32_e64 s[2:3], |v6|, s19
	v_cndmask_b32_e64 v6, 0, v8, s[2:3]
	v_cmp_ngt_f32_e64 s[2:3], s21, v10
	v_ldexp_f32 v8, v11, v13
	v_cndmask_b32_e64 v8, 0, v8, s[2:3]
	v_cmp_nlt_f32_e64 s[2:3], s18, v10
	v_add_f32_e32 v6, v9, v6
	v_cndmask_b32_e64 v8, v4, v8, s[2:3]
	s_and_b64 s[0:1], vcc, s[0:1]
	v_fma_f32 v6, v8, v6, v8
	v_cmp_class_f32_e64 s[2:3], v8, s17
	v_cndmask_b32_e64 v23, 1.0, v5, s[0:1]
	v_cndmask_b32_e64 v6, v6, v8, s[2:3]
	v_bfi_b32 v6, s22, v6, v23
	v_cndmask_b32_e32 v8, v2, v6, vcc
	v_cmp_gt_f32_e32 vcc, 0, v5
	v_cndmask_b32_e64 v9, 0, v5, s[0:1]
	s_sub_i32 s0, s33, 20
	v_cmp_class_f32_e64 s[10:11], v5, s17
	v_cndmask_b32_e32 v6, v6, v8, vcc
	v_cmp_eq_f32_e32 vcc, 0, v5
	s_ashr_i32 s1, s0, 31
	v_cndmask_b32_e64 v8, v4, 0, vcc
	s_lshl_b64 s[0:1], s[0:1], 2
	s_or_b64 vcc, vcc, s[10:11]
	s_add_u32 s10, s8, s0
	s_addc_u32 s11, s9, s1
	global_load_dword v22, v0, s[10:11]
	v_bfi_b32 v8, s22, v8, v9
	v_cndmask_b32_e32 v6, v6, v8, vcc
	v_cmp_o_f32_e32 vcc, v5, v5
	v_cndmask_b32_e32 v23, v2, v6, vcc
	v_mov_b32_e32 v11, 0x3e91f4c4
	s_waitcnt vmcnt(0)
	v_frexp_mant_f32_e64 v5, |v22|
	v_cmp_gt_f32_e64 s[0:1], s16, v5
	v_cndmask_b32_e64 v6, 1.0, 2.0, s[0:1]
	v_mul_f32_e32 v5, v5, v6
	v_add_f32_e32 v13, 1.0, v5
	v_cmp_eq_f32_e32 vcc, 1.0, v22
	v_cvt_f64_f32_e64 v[8:9], |v22|
	v_rcp_f32_e32 v18, v13
	v_cndmask_b32_e64 v24, 2.0, 1.0, vcc
	v_frexp_exp_i32_f64_e32 v8, v[8:9]
	v_trunc_f32_e32 v9, v24
	v_subbrev_co_u32_e64 v6, s[0:1], 0, v8, s[0:1]
	v_mul_f32_e32 v10, 0.5, v24
	v_cmp_eq_f32_e64 s[0:1], v9, v24
	v_add_f32_e32 v9, -1.0, v5
	v_trunc_f32_e32 v8, v10
	v_mul_f32_e32 v19, v9, v18
	v_cmp_neq_f32_e64 s[2:3], v8, v10
	v_add_f32_e32 v8, -1.0, v13
	v_mul_f32_e32 v14, v13, v19
	v_sub_f32_e32 v5, v5, v8
	v_fma_f32 v16, v19, v13, -v14
	v_fmac_f32_e32 v16, v19, v5
	v_add_f32_e32 v8, v14, v16
	v_sub_f32_e32 v15, v9, v8
	v_cvt_f32_i32_e32 v6, v6
	v_mov_b32_e32 v17, v8
	v_pk_add_f32 v[8:9], v[8:9], v[14:15] neg_lo:[0,1] neg_hi:[0,1]
	v_pk_add_f32 v[8:9], v[8:9], v[16:17] neg_lo:[0,1] neg_hi:[0,1]
	v_add_f32_e32 v5, v8, v9
	v_add_f32_e32 v5, v15, v5
	v_mul_f32_e32 v10, 0x3f317218, v6
	v_mul_f32_e32 v5, v18, v5
	v_fma_f32 v12, v6, s23, -v10
	v_add_f32_e32 v8, v19, v5
	v_fmac_f32_e32 v12, 0xb102e308, v6
	v_sub_f32_e32 v6, v8, v19
	v_mul_f32_e32 v9, v8, v8
	v_sub_f32_e32 v5, v5, v6
	v_fma_f32 v6, v8, v8, -v9
	v_add_f32_e32 v14, v5, v5
	v_fmac_f32_e32 v6, v8, v14
	v_add_f32_e32 v14, v9, v6
	v_fmac_f32_e32 v11, 0x3e76c4e1, v14
	v_sub_f32_e32 v9, v14, v9
	v_fma_f32 v11, v14, v11, v1
	v_sub_f32_e32 v6, v6, v9
	v_mul_f32_e32 v9, v14, v11
	v_fma_f32 v15, v14, v11, -v9
	v_fmac_f32_e32 v15, v6, v11
	v_add_f32_e32 v11, v9, v15
	v_add_f32_e32 v17, 0x3f2aaaaa, v11
	v_sub_f32_e32 v9, v11, v9
	v_sub_f32_e32 v9, v15, v9
	v_add_f32_e32 v15, 0xbf2aaaaa, v17
	v_add_f32_e32 v9, 0x31739010, v9
	v_sub_f32_e32 v15, v11, v15
	v_pk_mul_f32 v[18:19], v[8:9], v[14:15]
	v_fma_f32 v16, v14, v8, -v18
	v_pk_add_f32 v[20:21], v[8:9], v[14:15]
	v_fmac_f32_e32 v16, v14, v5
	v_mov_b32_e32 v19, v21
	v_fmac_f32_e32 v16, v6, v8
	v_ldexp_f32 v13, v8, 1
	v_pk_add_f32 v[8:9], v[18:19], v[16:17]
	v_mov_b32_e32 v6, v9
	v_ldexp_f32 v28, v5, 1
	v_sub_f32_e32 v5, v8, v18
	v_sub_f32_e32 v11, v17, v9
	v_pk_mul_f32 v[14:15], v[8:9], v[6:7]
	v_sub_f32_e32 v5, v16, v5
	v_add_f32_e32 v11, v21, v11
	v_fma_f32 v16, v8, v9, -v14
	v_fmac_f32_e32 v16, v8, v11
	v_fmac_f32_e32 v16, v5, v9
	v_add_f32_e32 v11, v14, v16
	v_pk_add_f32 v[8:9], v[10:11], v[12:13]
	v_mov_b32_e32 v15, v13
	v_mov_b32_e32 v18, v11
	v_mov_b32_e32 v19, v9
	v_mov_b32_e32 v17, v11
	v_pk_add_f32 v[14:15], v[18:19], v[14:15] neg_lo:[0,1] neg_hi:[0,1]
	v_pk_add_f32 v[14:15], v[16:17], v[14:15] neg_lo:[0,1] neg_hi:[0,1]
	v_add_f32_e32 v5, v28, v14
	v_add_f32_e32 v11, v5, v15
	v_pk_add_f32 v[14:15], v[8:9], v[10:11] neg_lo:[0,1] neg_hi:[0,1]
	v_pk_add_f32 v[16:17], v[8:9], v[10:11]
	v_mov_b32_e32 v13, v8
	v_mov_b32_e32 v18, v14
	;; [unrolled: 1-line block ×3, first 2 shown]
	v_pk_add_f32 v[18:19], v[12:13], v[18:19]
	v_mov_b32_e32 v6, v19
	v_mov_b32_e32 v20, v9
	v_pk_add_f32 v[8:9], v[6:7], v[8:9] neg_lo:[0,1] neg_hi:[0,1]
	v_mov_b32_e32 v18, v17
	v_mov_b32_e32 v5, v8
	;; [unrolled: 1-line block ×3, first 2 shown]
	v_pk_add_f32 v[14:15], v[12:13], v[14:15] neg_lo:[0,1] neg_hi:[0,1]
	v_mov_b32_e32 v12, v11
	v_pk_add_f32 v[8:9], v[16:17], v[4:5] neg_lo:[0,1] neg_hi:[0,1]
	v_pk_add_f32 v[10:11], v[18:19], v[20:21] neg_lo:[0,1] neg_hi:[0,1]
	;; [unrolled: 1-line block ×3, first 2 shown]
	v_mov_b32_e32 v8, v14
	v_pk_add_f32 v[8:9], v[8:9], v[10:11]
	v_mov_b32_e32 v12, v9
	v_pk_add_f32 v[12:13], v[8:9], v[12:13]
	v_pk_add_f32 v[16:17], v[6:7], v[12:13]
	v_mov_b32_e32 v15, v19
	v_mov_b32_e32 v9, v16
	;; [unrolled: 1-line block ×3, first 2 shown]
	v_pk_add_f32 v[12:13], v[8:9], v[14:15] neg_lo:[0,1] neg_hi:[0,1]
	v_sub_f32_e32 v5, v8, v12
	v_pk_add_f32 v[10:11], v[10:11], v[12:13] neg_lo:[0,1] neg_hi:[0,1]
	v_sub_f32_e32 v5, v14, v5
	v_add_f32_e32 v5, v10, v5
	v_add_f32_e32 v5, v5, v11
	;; [unrolled: 1-line block ×3, first 2 shown]
	v_sub_f32_e32 v8, v6, v16
	v_mul_f32_e32 v9, v24, v6
	v_sub_f32_e32 v5, v5, v8
	v_fma_f32 v6, v24, v6, -v9
	s_and_b64 s[2:3], s[0:1], s[2:3]
	v_fmac_f32_e32 v6, v24, v5
	v_cndmask_b32_e64 v26, 1.0, v22, s[2:3]
	v_cndmask_b32_e64 v27, 0, v22, s[2:3]
	v_add_f32_e32 v5, v9, v6
	v_cmp_class_f32_e64 s[2:3], v9, s17
	v_sub_f32_e32 v8, v5, v9
	v_cndmask_b32_e64 v5, v5, v9, s[2:3]
	v_cmp_eq_f32_e64 s[2:3], s18, v5
	v_sub_f32_e32 v6, v6, v8
	v_cndmask_b32_e64 v8, 0, v3, s[2:3]
	v_sub_f32_e32 v9, v5, v8
	v_mul_f32_e32 v10, 0x3fb8aa3b, v9
	v_fma_f32 v11, v9, s20, -v10
	v_rndne_f32_e32 v12, v10
	v_fmac_f32_e32 v11, 0x32a5705f, v9
	v_sub_f32_e32 v10, v10, v12
	v_add_f32_e32 v10, v10, v11
	v_cvt_i32_f32_e32 v12, v12
	v_exp_f32_e32 v10, v10
	v_cmp_neq_f32_e64 s[2:3], |v5|, s19
	v_cndmask_b32_e64 v5, 0, v6, s[2:3]
	v_cmp_ngt_f32_e64 s[2:3], s21, v9
	v_ldexp_f32 v6, v10, v12
	v_cndmask_b32_e64 v6, 0, v6, s[2:3]
	v_cmp_nlt_f32_e64 s[2:3], s18, v9
	v_add_f32_e32 v5, v8, v5
	v_cndmask_b32_e64 v6, v4, v6, s[2:3]
	v_fma_f32 v5, v6, v5, v6
	v_cmp_class_f32_e64 s[2:3], v6, s17
	v_cndmask_b32_e64 v5, v5, v6, s[2:3]
	v_cmp_eq_f32_e32 vcc, 0, v22
	v_bfi_b32 v5, s22, v5, v26
	v_cmp_class_f32_e64 s[12:13], v22, s17
	v_cndmask_b32_e64 v25, v4, 0, vcc
	v_cndmask_b32_e64 v6, v2, v5, s[0:1]
	v_cmp_gt_f32_e64 s[0:1], 0, v22
	v_cndmask_b32_e64 v5, v5, v6, s[0:1]
	v_bfi_b32 v6, s22, v25, v27
	s_or_b64 vcc, vcc, s[12:13]
	v_cndmask_b32_e32 v5, v5, v6, vcc
	v_cmp_o_f32_e32 vcc, v22, v22
	v_cndmask_b32_e32 v5, v2, v5, vcc
	v_add_f32_e32 v5, v23, v5
	s_mov_b32 s12, 0xf800000
	v_mul_f32_e32 v6, 0x4f800000, v5
	v_cmp_gt_f32_e32 vcc, s12, v5
	v_cndmask_b32_e32 v6, v5, v6, vcc
	v_sqrt_f32_e32 v5, v6
	v_add_u32_e32 v8, -1, v5
	v_fma_f32 v9, -v8, v5, v6
	v_cmp_ge_f32_e64 s[0:1], 0, v9
	v_add_u32_e32 v9, 1, v5
	v_cndmask_b32_e64 v8, v5, v8, s[0:1]
	v_fma_f32 v5, -v9, v5, v6
	v_cmp_lt_f32_e64 s[0:1], 0, v5
	v_cndmask_b32_e64 v5, v8, v9, s[0:1]
	v_mul_f32_e32 v8, 0x37800000, v5
	v_cndmask_b32_e32 v8, v5, v8, vcc
	v_mov_b32_e32 v5, 0x260
	v_cmp_class_f32_e32 vcc, v6, v5
	v_cndmask_b32_e32 v6, v8, v6, vcc
	v_mul_f32_e32 v6, v7, v6
	global_store_dword v0, v6, s[4:5] offset:4
	global_load_dword v8, v0, s[10:11]
	v_mov_b32_e32 v7, 0x3e91f4c4
	s_waitcnt vmcnt(0)
	v_cmp_ngt_f32_e32 vcc, 0, v8
	s_cbranch_vccnz .LBB1_23
; %bb.22:
	v_xor_b32_e32 v6, 0x80000000, v6
	global_store_dword v0, v6, s[4:5] offset:4
.LBB1_23:
	s_mul_i32 s13, s7, s6
	s_not_b32 s0, s6
	s_add_i32 s0, s0, s13
	s_mul_i32 s0, s0, 12
	s_ashr_i32 s1, s0, 31
	s_lshl_b64 s[0:1], s[0:1], 2
	s_add_u32 s0, s8, s0
	s_addc_u32 s1, s9, s1
	global_load_dword v6, v0, s[0:1] offset:12
	s_mul_i32 s13, s13, 12
	s_sub_i32 s0, s13, 20
	s_ashr_i32 s1, s0, 31
	s_lshl_b64 s[4:5], s[0:1], 2
	v_mov_b32_e32 v13, 0x3e91f4c4
	s_waitcnt vmcnt(0)
	v_frexp_mant_f32_e64 v10, |v6|
	v_cmp_eq_f32_e32 vcc, 1.0, v6
	v_cvt_f64_f32_e64 v[8:9], |v6|
	v_cmp_gt_f32_e64 s[0:1], s16, v10
	v_cndmask_b32_e64 v24, 2.0, 1.0, vcc
	v_cndmask_b32_e64 v11, 1.0, 2.0, s[0:1]
	v_frexp_exp_i32_f64_e32 v8, v[8:9]
	v_trunc_f32_e32 v9, v24
	v_mul_f32_e32 v14, 0.5, v24
	v_mul_f32_e32 v10, v10, v11
	v_subbrev_co_u32_e64 v8, s[0:1], 0, v8, s[0:1]
	v_cmp_eq_f32_e64 s[0:1], v9, v24
	v_trunc_f32_e32 v9, v14
	v_add_f32_e32 v15, 1.0, v10
	v_cmp_neq_f32_e64 s[2:3], v9, v14
	v_rcp_f32_e32 v9, v15
	v_add_f32_e32 v11, -1.0, v10
	v_cvt_f32_i32_e32 v17, v8
	v_cmp_eq_f32_e32 vcc, 0, v6
	v_mul_f32_e32 v20, v11, v9
	v_add_f32_e32 v8, -1.0, v15
	s_and_b64 s[2:3], s[0:1], s[2:3]
	v_mul_f32_e32 v16, v15, v20
	v_cndmask_b32_e64 v12, v4, 0, vcc
	v_sub_f32_e32 v10, v10, v8
	v_cndmask_b32_e64 v8, 0, v6, s[2:3]
	v_fma_f32 v18, v20, v15, -v16
	v_bfi_b32 v8, s22, v12, v8
	v_mul_f32_e32 v12, 0x3f317218, v17
	v_fmac_f32_e32 v18, v20, v10
	v_fma_f32 v14, v17, s23, -v12
	v_add_f32_e32 v10, v16, v18
	v_fmac_f32_e32 v14, 0xb102e308, v17
	v_sub_f32_e32 v17, v11, v10
	v_mov_b32_e32 v19, v10
	v_pk_add_f32 v[10:11], v[10:11], v[16:17] neg_lo:[0,1] neg_hi:[0,1]
	v_pk_add_f32 v[10:11], v[10:11], v[18:19] neg_lo:[0,1] neg_hi:[0,1]
	v_add_f32_e32 v10, v10, v11
	v_add_f32_e32 v10, v17, v10
	v_mul_f32_e32 v9, v9, v10
	v_add_f32_e32 v10, v20, v9
	v_sub_f32_e32 v11, v10, v20
	v_mul_f32_e32 v17, v10, v10
	v_sub_f32_e32 v9, v9, v11
	v_fma_f32 v11, v10, v10, -v17
	v_add_f32_e32 v16, v9, v9
	v_fmac_f32_e32 v11, v10, v16
	v_add_f32_e32 v16, v17, v11
	v_fmac_f32_e32 v13, 0x3e76c4e1, v16
	v_sub_f32_e32 v17, v16, v17
	v_fma_f32 v13, v16, v13, v1
	v_sub_f32_e32 v27, v11, v17
	v_mul_f32_e32 v11, v16, v13
	v_fma_f32 v17, v16, v13, -v11
	v_fmac_f32_e32 v17, v27, v13
	v_add_f32_e32 v13, v11, v17
	v_add_f32_e32 v19, 0x3f2aaaaa, v13
	v_sub_f32_e32 v11, v13, v11
	v_sub_f32_e32 v11, v17, v11
	v_add_f32_e32 v17, 0xbf2aaaaa, v19
	v_add_f32_e32 v11, 0x31739010, v11
	v_sub_f32_e32 v17, v13, v17
	v_pk_mul_f32 v[20:21], v[10:11], v[16:17]
	v_fma_f32 v18, v16, v10, -v20
	v_pk_add_f32 v[22:23], v[10:11], v[16:17]
	v_fmac_f32_e32 v18, v16, v9
	v_mov_b32_e32 v21, v23
	v_fmac_f32_e32 v18, v27, v10
	v_ldexp_f32 v15, v10, 1
	v_pk_add_f32 v[10:11], v[20:21], v[18:19]
	v_mov_b32_e32 v16, v11
	v_ldexp_f32 v26, v9, 1
	v_sub_f32_e32 v9, v10, v20
	v_sub_f32_e32 v13, v19, v11
	v_pk_mul_f32 v[16:17], v[10:11], v[16:17]
	v_sub_f32_e32 v9, v18, v9
	v_add_f32_e32 v13, v23, v13
	v_fma_f32 v18, v10, v11, -v16
	v_fmac_f32_e32 v18, v10, v13
	v_fmac_f32_e32 v18, v9, v11
	v_add_f32_e32 v13, v16, v18
	v_pk_add_f32 v[10:11], v[12:13], v[14:15]
	v_mov_b32_e32 v17, v15
	v_mov_b32_e32 v20, v13
	;; [unrolled: 1-line block ×4, first 2 shown]
	v_pk_add_f32 v[16:17], v[20:21], v[16:17] neg_lo:[0,1] neg_hi:[0,1]
	v_pk_add_f32 v[16:17], v[18:19], v[16:17] neg_lo:[0,1] neg_hi:[0,1]
	v_add_f32_e32 v9, v26, v16
	v_add_f32_e32 v13, v9, v17
	v_pk_add_f32 v[16:17], v[10:11], v[12:13] neg_lo:[0,1] neg_hi:[0,1]
	v_pk_add_f32 v[18:19], v[10:11], v[12:13]
	v_mov_b32_e32 v15, v10
	v_mov_b32_e32 v20, v16
	;; [unrolled: 1-line block ×3, first 2 shown]
	v_pk_add_f32 v[20:21], v[14:15], v[20:21]
	v_mov_b32_e32 v12, v21
	v_mov_b32_e32 v22, v11
	v_pk_add_f32 v[10:11], v[12:13], v[10:11] neg_lo:[0,1] neg_hi:[0,1]
	v_mov_b32_e32 v20, v19
	v_mov_b32_e32 v9, v10
	;; [unrolled: 1-line block ×3, first 2 shown]
	v_pk_add_f32 v[16:17], v[14:15], v[16:17] neg_lo:[0,1] neg_hi:[0,1]
	v_mov_b32_e32 v14, v13
	v_pk_add_f32 v[10:11], v[18:19], v[8:9] neg_lo:[0,1] neg_hi:[0,1]
	v_pk_add_f32 v[18:19], v[20:21], v[22:23] neg_lo:[0,1] neg_hi:[0,1]
	;; [unrolled: 1-line block ×3, first 2 shown]
	v_mov_b32_e32 v10, v16
	v_pk_add_f32 v[10:11], v[10:11], v[14:15]
	v_mov_b32_e32 v18, v11
	v_pk_add_f32 v[18:19], v[10:11], v[18:19]
	v_pk_add_f32 v[12:13], v[12:13], v[18:19]
	v_mov_b32_e32 v17, v21
	v_mov_b32_e32 v11, v12
	;; [unrolled: 1-line block ×3, first 2 shown]
	v_pk_add_f32 v[18:19], v[10:11], v[16:17] neg_lo:[0,1] neg_hi:[0,1]
	v_sub_f32_e32 v9, v10, v18
	v_pk_add_f32 v[14:15], v[14:15], v[18:19] neg_lo:[0,1] neg_hi:[0,1]
	v_sub_f32_e32 v9, v16, v9
	v_add_f32_e32 v9, v14, v9
	v_add_f32_e32 v9, v9, v15
	;; [unrolled: 1-line block ×3, first 2 shown]
	v_sub_f32_e32 v11, v10, v12
	v_mul_f32_e32 v12, v24, v10
	v_sub_f32_e32 v9, v9, v11
	v_fma_f32 v10, v24, v10, -v12
	v_fmac_f32_e32 v10, v24, v9
	v_cndmask_b32_e64 v25, 1.0, v6, s[2:3]
	v_add_f32_e32 v9, v12, v10
	v_cmp_class_f32_e64 s[2:3], v12, s17
	v_sub_f32_e32 v11, v9, v12
	v_cndmask_b32_e64 v9, v9, v12, s[2:3]
	v_cmp_eq_f32_e64 s[2:3], s18, v9
	v_sub_f32_e32 v10, v10, v11
	v_cndmask_b32_e64 v11, 0, v3, s[2:3]
	v_sub_f32_e32 v12, v9, v11
	v_mul_f32_e32 v13, 0x3fb8aa3b, v12
	v_fma_f32 v14, v12, s20, -v13
	v_rndne_f32_e32 v15, v13
	v_fmac_f32_e32 v14, 0x32a5705f, v12
	v_sub_f32_e32 v13, v13, v15
	v_add_f32_e32 v13, v13, v14
	v_cvt_i32_f32_e32 v15, v15
	v_exp_f32_e32 v13, v13
	v_cmp_neq_f32_e64 s[2:3], |v9|, s19
	v_cndmask_b32_e64 v9, 0, v10, s[2:3]
	v_cmp_ngt_f32_e64 s[2:3], s21, v12
	v_ldexp_f32 v10, v13, v15
	v_cndmask_b32_e64 v10, 0, v10, s[2:3]
	v_cmp_nlt_f32_e64 s[2:3], s18, v12
	v_add_f32_e32 v9, v11, v9
	v_cndmask_b32_e64 v10, v4, v10, s[2:3]
	v_fma_f32 v9, v10, v9, v10
	v_cmp_class_f32_e64 s[2:3], v10, s17
	v_cndmask_b32_e64 v9, v9, v10, s[2:3]
	v_cmp_class_f32_e64 s[10:11], v6, s17
	v_bfi_b32 v9, s22, v9, v25
	v_cndmask_b32_e64 v10, v2, v9, s[0:1]
	v_cmp_gt_f32_e64 s[0:1], 0, v6
	s_or_b64 vcc, vcc, s[10:11]
	v_cndmask_b32_e64 v10, v9, v10, s[0:1]
	s_add_u32 s0, s8, s4
	s_addc_u32 s1, s9, s5
	s_nop 0
	global_load_dword v9, v0, s[0:1]
	s_mov_b32 s0, s7
	s_ashr_i32 s1, s7, 31
	s_lshl_b64 s[6:7], s[0:1], 2
	s_waitcnt vmcnt(0)
	v_frexp_mant_f32_e64 v14, |v9|
	v_cmp_eq_f32_e64 s[0:1], 1.0, v9
	v_cmp_gt_f32_e64 s[2:3], s16, v14
	v_cndmask_b32_e64 v11, 2.0, 1.0, s[0:1]
	v_cndmask_b32_e64 v16, 1.0, 2.0, s[2:3]
	v_cvt_f64_f32_e64 v[12:13], |v9|
	v_mul_f32_e32 v17, 0.5, v11
	v_mul_f32_e32 v14, v14, v16
	v_frexp_exp_i32_f64_e32 v12, v[12:13]
	v_trunc_f32_e32 v16, v17
	v_add_f32_e32 v19, 1.0, v14
	v_trunc_f32_e32 v13, v11
	v_subbrev_co_u32_e64 v12, s[2:3], 0, v12, s[2:3]
	v_cmp_neq_f32_e64 s[4:5], v16, v17
	v_rcp_f32_e32 v17, v19
	v_cmp_eq_f32_e64 s[2:3], v13, v11
	v_cmp_eq_f32_e64 s[0:1], 0, v9
	v_cvt_f32_i32_e32 v12, v12
	v_add_f32_e32 v16, -1.0, v19
	s_and_b64 s[4:5], s[2:3], s[4:5]
	v_cndmask_b32_e64 v15, v4, 0, s[0:1]
	v_add_f32_e32 v13, -1.0, v14
	v_sub_f32_e32 v21, v14, v16
	v_cndmask_b32_e64 v14, 0, v9, s[4:5]
	v_bfi_b32 v27, s22, v15, v14
	v_mul_f32_e32 v15, v13, v17
	v_mul_f32_e32 v18, v19, v15
	;; [unrolled: 1-line block ×3, first 2 shown]
	v_fma_f32 v20, v15, v19, -v18
	v_fma_f32 v16, v12, s23, -v14
	v_fmac_f32_e32 v20, v15, v21
	v_fmac_f32_e32 v16, 0xb102e308, v12
	v_add_f32_e32 v12, v18, v20
	v_sub_f32_e32 v19, v13, v12
	v_mov_b32_e32 v21, v12
	v_pk_add_f32 v[12:13], v[12:13], v[18:19] neg_lo:[0,1] neg_hi:[0,1]
	v_pk_add_f32 v[12:13], v[12:13], v[20:21] neg_lo:[0,1] neg_hi:[0,1]
	v_add_f32_e32 v12, v12, v13
	v_add_f32_e32 v12, v19, v12
	v_mul_f32_e32 v13, v17, v12
	v_add_f32_e32 v12, v15, v13
	v_sub_f32_e32 v15, v12, v15
	v_mul_f32_e32 v19, v12, v12
	v_sub_f32_e32 v15, v13, v15
	v_fma_f32 v13, v12, v12, -v19
	v_add_f32_e32 v18, v15, v15
	v_fmac_f32_e32 v13, v12, v18
	v_add_f32_e32 v18, v19, v13
	v_fmac_f32_e32 v7, 0x3e76c4e1, v18
	v_sub_f32_e32 v19, v18, v19
	v_fmac_f32_e32 v1, v18, v7
	v_sub_f32_e32 v7, v13, v19
	v_mul_f32_e32 v13, v18, v1
	v_fma_f32 v19, v18, v1, -v13
	v_fmac_f32_e32 v19, v7, v1
	v_add_f32_e32 v1, v13, v19
	v_add_f32_e32 v21, 0x3f2aaaaa, v1
	v_sub_f32_e32 v13, v1, v13
	v_sub_f32_e32 v13, v19, v13
	v_add_f32_e32 v19, 0xbf2aaaaa, v21
	v_add_f32_e32 v13, 0x31739010, v13
	v_sub_f32_e32 v19, v1, v19
	v_pk_mul_f32 v[22:23], v[12:13], v[18:19]
	v_fma_f32 v20, v18, v12, -v22
	v_pk_add_f32 v[24:25], v[12:13], v[18:19]
	v_fmac_f32_e32 v20, v18, v15
	v_mov_b32_e32 v23, v25
	v_fmac_f32_e32 v20, v7, v12
	v_ldexp_f32 v17, v12, 1
	v_pk_add_f32 v[12:13], v[22:23], v[20:21]
	v_mov_b32_e32 v18, v13
	v_sub_f32_e32 v1, v12, v22
	v_sub_f32_e32 v7, v21, v13
	v_pk_mul_f32 v[18:19], v[12:13], v[18:19]
	v_sub_f32_e32 v1, v20, v1
	v_add_f32_e32 v7, v25, v7
	v_fma_f32 v20, v12, v13, -v18
	v_fmac_f32_e32 v20, v12, v7
	v_fmac_f32_e32 v20, v1, v13
	v_ldexp_f32 v28, v15, 1
	v_add_f32_e32 v15, v18, v20
	v_pk_add_f32 v[12:13], v[14:15], v[16:17]
	v_mov_b32_e32 v19, v17
	v_mov_b32_e32 v22, v15
	;; [unrolled: 1-line block ×4, first 2 shown]
	v_pk_add_f32 v[18:19], v[22:23], v[18:19] neg_lo:[0,1] neg_hi:[0,1]
	v_pk_add_f32 v[18:19], v[20:21], v[18:19] neg_lo:[0,1] neg_hi:[0,1]
	v_add_f32_e32 v1, v28, v18
	v_add_f32_e32 v15, v1, v19
	v_pk_add_f32 v[18:19], v[12:13], v[14:15] neg_lo:[0,1] neg_hi:[0,1]
	v_pk_add_f32 v[20:21], v[12:13], v[14:15]
	v_mov_b32_e32 v17, v12
	v_mov_b32_e32 v22, v18
	;; [unrolled: 1-line block ×3, first 2 shown]
	v_pk_add_f32 v[22:23], v[16:17], v[22:23]
	v_mov_b32_e32 v14, v23
	v_mov_b32_e32 v24, v13
	v_pk_add_f32 v[12:13], v[14:15], v[12:13] neg_lo:[0,1] neg_hi:[0,1]
	v_mov_b32_e32 v22, v21
	v_mov_b32_e32 v1, v12
	;; [unrolled: 1-line block ×3, first 2 shown]
	v_pk_add_f32 v[18:19], v[16:17], v[18:19] neg_lo:[0,1] neg_hi:[0,1]
	v_mov_b32_e32 v16, v15
	v_pk_add_f32 v[12:13], v[20:21], v[0:1] neg_lo:[0,1] neg_hi:[0,1]
	v_pk_add_f32 v[20:21], v[22:23], v[24:25] neg_lo:[0,1] neg_hi:[0,1]
	;; [unrolled: 1-line block ×3, first 2 shown]
	v_mov_b32_e32 v12, v18
	v_pk_add_f32 v[12:13], v[12:13], v[16:17]
	v_mov_b32_e32 v20, v13
	v_pk_add_f32 v[20:21], v[12:13], v[20:21]
	v_pk_add_f32 v[14:15], v[14:15], v[20:21]
	v_mov_b32_e32 v19, v23
	v_mov_b32_e32 v13, v14
	;; [unrolled: 1-line block ×3, first 2 shown]
	v_pk_add_f32 v[20:21], v[12:13], v[18:19] neg_lo:[0,1] neg_hi:[0,1]
	v_sub_f32_e32 v1, v12, v20
	v_pk_add_f32 v[16:17], v[16:17], v[20:21] neg_lo:[0,1] neg_hi:[0,1]
	v_sub_f32_e32 v1, v18, v1
	v_add_f32_e32 v1, v16, v1
	v_add_f32_e32 v1, v1, v17
	;; [unrolled: 1-line block ×3, first 2 shown]
	v_sub_f32_e32 v12, v7, v14
	v_mul_f32_e32 v13, v11, v7
	v_sub_f32_e32 v1, v1, v12
	v_fma_f32 v7, v11, v7, -v13
	v_fmac_f32_e32 v7, v11, v1
	v_cndmask_b32_e64 v26, 1.0, v9, s[4:5]
	v_add_f32_e32 v1, v13, v7
	v_cmp_class_f32_e64 s[4:5], v13, s17
	v_sub_f32_e32 v11, v1, v13
	v_cndmask_b32_e64 v1, v1, v13, s[4:5]
	v_cmp_eq_f32_e64 s[4:5], s18, v1
	v_cndmask_b32_e64 v3, 0, v3, s[4:5]
	v_sub_f32_e32 v7, v7, v11
	v_sub_f32_e32 v11, v1, v3
	v_mul_f32_e32 v12, 0x3fb8aa3b, v11
	v_fma_f32 v13, v11, s20, -v12
	v_rndne_f32_e32 v14, v12
	v_fmac_f32_e32 v13, 0x32a5705f, v11
	v_sub_f32_e32 v12, v12, v14
	v_add_f32_e32 v12, v12, v13
	v_cvt_i32_f32_e32 v14, v14
	v_exp_f32_e32 v12, v12
	v_cmp_neq_f32_e64 s[4:5], |v1|, s19
	v_cndmask_b32_e64 v1, 0, v7, s[4:5]
	v_add_f32_e32 v1, v3, v1
	v_ldexp_f32 v3, v12, v14
	v_cmp_ngt_f32_e64 s[4:5], s21, v11
	v_cndmask_b32_e64 v3, 0, v3, s[4:5]
	v_cmp_nlt_f32_e64 s[4:5], s18, v11
	v_cndmask_b32_e64 v3, v4, v3, s[4:5]
	v_fma_f32 v1, v3, v1, v3
	v_cmp_class_f32_e64 s[4:5], v3, s17
	v_cndmask_b32_e64 v1, v1, v3, s[4:5]
	v_cmp_class_f32_e64 s[10:11], v9, s17
	v_bfi_b32 v1, s22, v1, v26
	v_cndmask_b32_e64 v3, v2, v1, s[2:3]
	v_cmp_gt_f32_e64 s[2:3], 0, v9
	s_or_b64 s[0:1], s[0:1], s[10:11]
	v_cndmask_b32_e64 v1, v1, v3, s[2:3]
	s_add_u32 s2, s14, s6
	s_addc_u32 s3, s15, s7
	v_cndmask_b32_e32 v4, v10, v8, vcc
	global_load_dword v3, v0, s[2:3]
	v_cmp_o_f32_e32 vcc, v6, v6
	v_cndmask_b32_e64 v1, v1, v27, s[0:1]
	v_cmp_o_f32_e64 s[0:1], v9, v9
	v_cndmask_b32_e32 v4, v2, v4, vcc
	v_cndmask_b32_e64 v1, v2, v1, s[0:1]
	s_add_i32 s0, s13, -12
	v_add_f32_e32 v1, v4, v1
	s_ashr_i32 s1, s0, 31
	v_mul_f32_e32 v2, 0x4f800000, v1
	s_lshl_b64 s[2:3], s[0:1], 2
	v_cmp_gt_f32_e64 s[0:1], s12, v1
	v_cndmask_b32_e64 v1, v1, v2, s[0:1]
	v_sqrt_f32_e32 v2, v1
	s_add_u32 s4, s8, s2
	s_addc_u32 s5, s9, s3
	v_cmp_ngt_f32_e32 vcc, 0, v9
	v_add_u32_e32 v4, -1, v2
	v_add_u32_e32 v6, 1, v2
	v_fma_f32 v7, -v4, v2, v1
	v_fma_f32 v8, -v6, v2, v1
	v_cmp_ge_f32_e64 s[2:3], 0, v7
	v_cndmask_b32_e64 v2, v2, v4, s[2:3]
	v_cmp_lt_f32_e64 s[2:3], 0, v8
	v_cndmask_b32_e64 v2, v2, v6, s[2:3]
	v_mul_f32_e32 v4, 0x37800000, v2
	v_cndmask_b32_e64 v2, v2, v4, s[0:1]
	v_cmp_class_f32_e64 s[0:1], v1, v5
	v_cndmask_b32_e64 v1, v2, v1, s[0:1]
	s_waitcnt vmcnt(0)
	v_mul_f32_e32 v1, v3, v1
	global_store_dword v0, v1, s[4:5] offset:4
	s_cbranch_vccnz .LBB1_25
; %bb.24:
	v_xor_b32_e32 v0, 0x80000000, v1
	v_mov_b32_e32 v1, 0
	global_store_dword v1, v0, s[4:5] offset:4
.LBB1_25:
	s_endpgm
	.section	.rodata,"a",@progbits
	.p2align	6, 0x0
	.amdhsa_kernel _Z7kernel2PfPKfS1_S1_S1_iiiiii
		.amdhsa_group_segment_fixed_size 0
		.amdhsa_private_segment_fixed_size 0
		.amdhsa_kernarg_size 64
		.amdhsa_user_sgpr_count 6
		.amdhsa_user_sgpr_private_segment_buffer 1
		.amdhsa_user_sgpr_dispatch_ptr 0
		.amdhsa_user_sgpr_queue_ptr 0
		.amdhsa_user_sgpr_kernarg_segment_ptr 1
		.amdhsa_user_sgpr_dispatch_id 0
		.amdhsa_user_sgpr_flat_scratch_init 0
		.amdhsa_user_sgpr_kernarg_preload_length 0
		.amdhsa_user_sgpr_kernarg_preload_offset 0
		.amdhsa_user_sgpr_private_segment_size 0
		.amdhsa_uses_dynamic_stack 0
		.amdhsa_system_sgpr_private_segment_wavefront_offset 0
		.amdhsa_system_sgpr_workgroup_id_x 1
		.amdhsa_system_sgpr_workgroup_id_y 0
		.amdhsa_system_sgpr_workgroup_id_z 0
		.amdhsa_system_sgpr_workgroup_info 0
		.amdhsa_system_vgpr_workitem_id 0
		.amdhsa_next_free_vgpr 31
		.amdhsa_next_free_sgpr 46
		.amdhsa_accum_offset 32
		.amdhsa_reserve_vcc 1
		.amdhsa_reserve_flat_scratch 0
		.amdhsa_float_round_mode_32 0
		.amdhsa_float_round_mode_16_64 0
		.amdhsa_float_denorm_mode_32 3
		.amdhsa_float_denorm_mode_16_64 3
		.amdhsa_dx10_clamp 1
		.amdhsa_ieee_mode 1
		.amdhsa_fp16_overflow 0
		.amdhsa_tg_split 0
		.amdhsa_exception_fp_ieee_invalid_op 0
		.amdhsa_exception_fp_denorm_src 0
		.amdhsa_exception_fp_ieee_div_zero 0
		.amdhsa_exception_fp_ieee_overflow 0
		.amdhsa_exception_fp_ieee_underflow 0
		.amdhsa_exception_fp_ieee_inexact 0
		.amdhsa_exception_int_div_zero 0
	.end_amdhsa_kernel
	.text
.Lfunc_end1:
	.size	_Z7kernel2PfPKfS1_S1_S1_iiiiii, .Lfunc_end1-_Z7kernel2PfPKfS1_S1_S1_iiiiii
                                        ; -- End function
	.section	.AMDGPU.csdata,"",@progbits
; Kernel info:
; codeLenInByte = 18084
; NumSgprs: 50
; NumVgprs: 31
; NumAgprs: 0
; TotalNumVgprs: 31
; ScratchSize: 0
; MemoryBound: 0
; FloatMode: 240
; IeeeMode: 1
; LDSByteSize: 0 bytes/workgroup (compile time only)
; SGPRBlocks: 6
; VGPRBlocks: 3
; NumSGPRsForWavesPerEU: 50
; NumVGPRsForWavesPerEU: 31
; AccumOffset: 32
; Occupancy: 8
; WaveLimiterHint : 0
; COMPUTE_PGM_RSRC2:SCRATCH_EN: 0
; COMPUTE_PGM_RSRC2:USER_SGPR: 6
; COMPUTE_PGM_RSRC2:TRAP_HANDLER: 0
; COMPUTE_PGM_RSRC2:TGID_X_EN: 1
; COMPUTE_PGM_RSRC2:TGID_Y_EN: 0
; COMPUTE_PGM_RSRC2:TGID_Z_EN: 0
; COMPUTE_PGM_RSRC2:TIDIG_COMP_CNT: 0
; COMPUTE_PGM_RSRC3_GFX90A:ACCUM_OFFSET: 7
; COMPUTE_PGM_RSRC3_GFX90A:TG_SPLIT: 0
	.text
	.protected	_Z7kernel3PfS_iiiii     ; -- Begin function _Z7kernel3PfS_iiiii
	.globl	_Z7kernel3PfS_iiiii
	.p2align	8
	.type	_Z7kernel3PfS_iiiii,@function
_Z7kernel3PfS_iiiii:                    ; @_Z7kernel3PfS_iiiii
; %bb.0:
	s_load_dword s8, s[4:5], 0x34
	s_load_dwordx4 s[0:3], s[4:5], 0x10
	v_and_b32_e32 v1, 0x3ff, v0
	v_bfe_u32 v0, v0, 10, 10
	s_waitcnt lgkmcnt(0)
	s_lshr_b32 s9, s8, 16
	s_and_b32 s8, s8, 0xffff
	s_mul_i32 s6, s6, s8
	s_add_i32 s6, s6, s1
	s_mul_i32 s1, s7, s9
	s_add_i32 s1, s1, s0
	v_add_u32_e32 v2, s6, v1
	v_add_u32_e32 v0, s1, v0
	v_cmp_ge_i32_e32 vcc, s2, v0
	v_cmp_ge_i32_e64 s[0:1], s3, v2
	s_and_b64 s[0:1], s[0:1], vcc
	s_and_saveexec_b64 s[2:3], s[0:1]
	s_cbranch_execz .LBB2_5
; %bb.1:
	s_load_dword s6, s[4:5], 0x20
	s_load_dwordx2 s[0:1], s[4:5], 0x0
	v_add_u32_e32 v0, -1, v0
	s_waitcnt lgkmcnt(0)
	v_mad_u64_u32 v[2:3], s[2:3], v0, s6, v[2:3]
	v_add_u32_e32 v4, -1, v2
	v_mul_lo_u32 v0, v4, 12
	v_ashrrev_i32_e32 v1, 31, v0
	v_add_u32_e32 v4, s6, v4
	v_lshlrev_b64 v[0:1], 2, v[0:1]
	v_mul_lo_u32 v4, v4, 12
	v_mov_b32_e32 v3, s1
	v_add_co_u32_e32 v0, vcc, s0, v0
	v_ashrrev_i32_e32 v5, 31, v4
	v_addc_co_u32_e32 v1, vcc, v3, v1, vcc
	v_lshlrev_b64 v[4:5], 2, v[4:5]
	v_add_co_u32_e32 v4, vcc, s0, v4
	v_addc_co_u32_e32 v5, vcc, v3, v5, vcc
	global_load_dword v6, v[0:1], off
	global_load_dword v3, v[4:5], off
	s_waitcnt vmcnt(0)
	v_mul_f32_e32 v3, v6, v3
	v_cmp_neq_f32_e32 vcc, 0, v3
	s_and_saveexec_b64 s[2:3], vcc
	s_cbranch_execz .LBB2_3
; %bb.2:
	global_load_dword v3, v[0:1], off offset:24
	global_load_dword v7, v[4:5], off offset:4
	global_load_dword v8, v[0:1], off offset:4
	global_load_dword v9, v[0:1], off offset:12
	s_waitcnt vmcnt(1)
	v_sub_f32_e32 v4, v7, v8
	s_waitcnt vmcnt(0)
	v_fma_f32 v3, -v3, v4, v9
	global_store_dword v[0:1], v3, off offset:12
.LBB2_3:
	s_or_b64 exec, exec, s[2:3]
	v_mul_lo_u32 v2, v2, 12
	v_ashrrev_i32_e32 v3, 31, v2
	v_lshlrev_b64 v[2:3], 2, v[2:3]
	v_mov_b32_e32 v4, s1
	v_add_co_u32_e32 v2, vcc, s0, v2
	v_addc_co_u32_e32 v3, vcc, v4, v3, vcc
	global_load_dword v4, v[2:3], off
	s_waitcnt vmcnt(0)
	v_mul_f32_e32 v4, v6, v4
	v_cmp_neq_f32_e32 vcc, 0, v4
	s_and_b64 exec, exec, vcc
	s_cbranch_execz .LBB2_5
; %bb.4:
	global_load_dword v4, v[0:1], off offset:32
	global_load_dword v5, v[2:3], off offset:4
	;; [unrolled: 1-line block ×4, first 2 shown]
	s_waitcnt vmcnt(1)
	v_sub_f32_e32 v2, v5, v6
	s_waitcnt vmcnt(0)
	v_fma_f32 v2, -v4, v2, v7
	global_store_dword v[0:1], v2, off offset:16
.LBB2_5:
	s_endpgm
	.section	.rodata,"a",@progbits
	.p2align	6, 0x0
	.amdhsa_kernel _Z7kernel3PfS_iiiii
		.amdhsa_group_segment_fixed_size 0
		.amdhsa_private_segment_fixed_size 0
		.amdhsa_kernarg_size 296
		.amdhsa_user_sgpr_count 6
		.amdhsa_user_sgpr_private_segment_buffer 1
		.amdhsa_user_sgpr_dispatch_ptr 0
		.amdhsa_user_sgpr_queue_ptr 0
		.amdhsa_user_sgpr_kernarg_segment_ptr 1
		.amdhsa_user_sgpr_dispatch_id 0
		.amdhsa_user_sgpr_flat_scratch_init 0
		.amdhsa_user_sgpr_kernarg_preload_length 0
		.amdhsa_user_sgpr_kernarg_preload_offset 0
		.amdhsa_user_sgpr_private_segment_size 0
		.amdhsa_uses_dynamic_stack 0
		.amdhsa_system_sgpr_private_segment_wavefront_offset 0
		.amdhsa_system_sgpr_workgroup_id_x 1
		.amdhsa_system_sgpr_workgroup_id_y 1
		.amdhsa_system_sgpr_workgroup_id_z 0
		.amdhsa_system_sgpr_workgroup_info 0
		.amdhsa_system_vgpr_workitem_id 1
		.amdhsa_next_free_vgpr 10
		.amdhsa_next_free_sgpr 10
		.amdhsa_accum_offset 12
		.amdhsa_reserve_vcc 1
		.amdhsa_reserve_flat_scratch 0
		.amdhsa_float_round_mode_32 0
		.amdhsa_float_round_mode_16_64 0
		.amdhsa_float_denorm_mode_32 3
		.amdhsa_float_denorm_mode_16_64 3
		.amdhsa_dx10_clamp 1
		.amdhsa_ieee_mode 1
		.amdhsa_fp16_overflow 0
		.amdhsa_tg_split 0
		.amdhsa_exception_fp_ieee_invalid_op 0
		.amdhsa_exception_fp_denorm_src 0
		.amdhsa_exception_fp_ieee_div_zero 0
		.amdhsa_exception_fp_ieee_overflow 0
		.amdhsa_exception_fp_ieee_underflow 0
		.amdhsa_exception_fp_ieee_inexact 0
		.amdhsa_exception_int_div_zero 0
	.end_amdhsa_kernel
	.text
.Lfunc_end2:
	.size	_Z7kernel3PfS_iiiii, .Lfunc_end2-_Z7kernel3PfS_iiiii
                                        ; -- End function
	.section	.AMDGPU.csdata,"",@progbits
; Kernel info:
; codeLenInByte = 420
; NumSgprs: 14
; NumVgprs: 10
; NumAgprs: 0
; TotalNumVgprs: 10
; ScratchSize: 0
; MemoryBound: 0
; FloatMode: 240
; IeeeMode: 1
; LDSByteSize: 0 bytes/workgroup (compile time only)
; SGPRBlocks: 1
; VGPRBlocks: 1
; NumSGPRsForWavesPerEU: 14
; NumVGPRsForWavesPerEU: 10
; AccumOffset: 12
; Occupancy: 8
; WaveLimiterHint : 0
; COMPUTE_PGM_RSRC2:SCRATCH_EN: 0
; COMPUTE_PGM_RSRC2:USER_SGPR: 6
; COMPUTE_PGM_RSRC2:TRAP_HANDLER: 0
; COMPUTE_PGM_RSRC2:TGID_X_EN: 1
; COMPUTE_PGM_RSRC2:TGID_Y_EN: 1
; COMPUTE_PGM_RSRC2:TGID_Z_EN: 0
; COMPUTE_PGM_RSRC2:TIDIG_COMP_CNT: 1
; COMPUTE_PGM_RSRC3_GFX90A:ACCUM_OFFSET: 2
; COMPUTE_PGM_RSRC3_GFX90A:TG_SPLIT: 0
	.text
	.protected	_Z7kernel4PfPKfS1_S1_S1_PiS2_S2_S2_iif ; -- Begin function _Z7kernel4PfPKfS1_S1_S1_PiS2_S2_S2_iif
	.globl	_Z7kernel4PfPKfS1_S1_S1_PiS2_S2_S2_iif
	.p2align	8
	.type	_Z7kernel4PfPKfS1_S1_S1_PiS2_S2_S2_iif,@function
_Z7kernel4PfPKfS1_S1_S1_PiS2_S2_S2_iif: ; @_Z7kernel4PfPKfS1_S1_S1_PiS2_S2_S2_iif
; %bb.0:
	s_load_dwordx8 s[8:15], s[4:5], 0x28
	s_waitcnt lgkmcnt(0)
	s_load_dword s28, s[10:11], 0x0
	s_load_dwordx2 s[6:7], s[4:5], 0x0
	s_load_dwordx4 s[16:19], s[4:5], 0x48
	s_waitcnt lgkmcnt(0)
	s_cmp_gt_i32 s28, 2
	s_cselect_b64 s[22:23], -1, 0
	s_and_b64 vcc, exec, s[22:23]
	s_cbranch_vccnz .LBB3_4
; %bb.1:
	s_cmp_lt_i32 s17, 2
	s_cbranch_scc1 .LBB3_4
; %bb.2:
	s_add_u32 s3, s6, 4
	s_mul_i32 s2, s16, 12
	s_addc_u32 s4, s7, 0
	s_add_i32 s5, s17, -1
	s_mov_b32 s0, 0
	v_mov_b32_e32 v0, 0
.LBB3_3:                                ; =>This Inner Loop Header: Depth=1
	s_ashr_i32 s1, s0, 31
	s_lshl_b64 s[20:21], s[0:1], 2
	s_add_u32 s20, s6, s20
	s_addc_u32 s21, s7, s21
	s_add_i32 s0, s2, s0
	s_ashr_i32 s1, s0, 31
	s_lshl_b64 s[24:25], s[0:1], 2
	s_add_u32 s24, s3, s24
	s_addc_u32 s25, s4, s25
	global_load_dword v1, v0, s[20:21] offset:24
	global_load_dword v2, v0, s[24:25]
	global_load_dword v3, v0, s[20:21] offset:4
	global_load_dword v4, v0, s[20:21] offset:12
	s_add_i32 s5, s5, -1
	s_cmp_lg_u32 s5, 0
	s_waitcnt vmcnt(1)
	v_sub_f32_e32 v2, v2, v3
	s_waitcnt vmcnt(0)
	v_fma_f32 v1, -v1, v2, v4
	global_store_dword v0, v1, s[20:21] offset:12
	s_cbranch_scc1 .LBB3_3
.LBB3_4:
	s_load_dword s29, s[8:9], 0x0
	s_waitcnt lgkmcnt(0)
	s_cmp_lt_i32 s29, 3
	s_cselect_b64 s[20:21], -1, 0
	s_cmp_gt_i32 s29, 2
	s_cbranch_scc1 .LBB3_8
; %bb.5:
	s_cmp_lt_i32 s16, 1
	s_cbranch_scc1 .LBB3_8
; %bb.6:
	s_add_u32 s2, s6, 4
	s_addc_u32 s3, s7, 0
	s_mul_i32 s4, s16, 12
	s_mov_b32 s0, 0
	v_mov_b32_e32 v0, 0
	s_mov_b32 s5, s16
.LBB3_7:                                ; =>This Inner Loop Header: Depth=1
	s_ashr_i32 s1, s0, 31
	s_lshl_b64 s[24:25], s[0:1], 2
	s_add_u32 s24, s6, s24
	s_addc_u32 s25, s7, s25
	s_add_i32 s26, s4, s0
	s_ashr_i32 s27, s26, 31
	s_lshl_b64 s[26:27], s[26:27], 2
	s_add_u32 s26, s2, s26
	s_addc_u32 s27, s3, s27
	global_load_dword v1, v0, s[24:25] offset:24
	global_load_dword v2, v0, s[26:27]
	global_load_dword v3, v0, s[24:25] offset:4
	global_load_dword v4, v0, s[24:25] offset:12
	s_add_i32 s5, s5, -1
	s_add_i32 s0, s0, 12
	s_cmp_lg_u32 s5, 0
	s_waitcnt vmcnt(1)
	v_sub_f32_e32 v2, v2, v3
	s_waitcnt vmcnt(0)
	v_fma_f32 v1, -v1, v2, v4
	global_store_dword v0, v1, s[24:25] offset:12
	s_cbranch_scc1 .LBB3_7
.LBB3_8:
	s_load_dword s30, s[14:15], 0x0
	s_add_i32 s19, s16, -1
	s_waitcnt lgkmcnt(0)
	s_cmp_lt_i32 s30, s19
	s_cbranch_scc1 .LBB3_12
; %bb.9:
	s_cmp_lt_i32 s17, 2
	s_cbranch_scc1 .LBB3_12
; %bb.10:
	s_add_u32 s0, s6, 4
	s_addc_u32 s1, s7, 0
	s_add_i32 s2, s17, -1
	s_mul_i32 s3, s16, 12
	s_mul_i32 s4, s16, 24
	s_mov_b32 s5, -12
	v_mov_b32_e32 v0, 0
.LBB3_11:                               ; =>This Inner Loop Header: Depth=1
	s_add_i32 s24, s3, s5
	s_ashr_i32 s25, s24, 31
	s_lshl_b64 s[26:27], s[24:25], 2
	s_add_u32 s26, s6, s26
	s_addc_u32 s27, s7, s27
	s_add_i32 s34, s4, s5
	s_ashr_i32 s35, s34, 31
	s_lshl_b64 s[34:35], s[34:35], 2
	s_add_u32 s34, s0, s34
	s_addc_u32 s35, s1, s35
	global_load_dword v1, v0, s[26:27] offset:12
	global_load_dword v2, v0, s[26:27] offset:24
	global_load_dword v3, v0, s[34:35]
	global_load_dword v4, v0, s[26:27] offset:4
	s_add_i32 s2, s2, -1
	s_mov_b32 s5, s24
	s_cmp_lg_u32 s2, 0
	s_waitcnt vmcnt(0)
	v_sub_f32_e32 v3, v3, v4
	v_fma_f32 v1, -v2, v3, v1
	global_store_dword v0, v1, s[26:27] offset:12
	s_cbranch_scc1 .LBB3_11
.LBB3_12:
	s_cmp_gt_i32 s16, 1
	s_cselect_b64 s[24:25], -1, 0
	s_and_b64 s[0:1], s[20:21], s[24:25]
	s_andn2_b64 vcc, exec, s[0:1]
	s_mov_b32 s5, 1
	s_cbranch_vccnz .LBB3_21
; %bb.13:
	s_cmpk_lt_u32 s16, 0x6f
	s_cselect_b64 s[0:1], -1, 0
	s_and_b64 vcc, exec, s[0:1]
	s_cbranch_vccnz .LBB3_18
; %bb.14:
	s_add_i32 s4, s16, -2
	s_mul_hi_u32 s0, s4, 12
	s_mul_i32 s2, s4, 12
	s_cmp_eq_u32 s0, 0
	s_cselect_b64 s[0:1], -1, 0
	s_cmp_lt_u32 s2, 0x7ffffff8
	s_cselect_b64 s[2:3], -1, 0
	s_and_b64 s[34:35], s[2:3], s[0:1]
	s_add_u32 s0, s6, 4
	s_addc_u32 s1, s7, 0
	s_mul_hi_u32 s2, s4, 48
	s_mul_i32 s4, s4, 48
	s_add_u32 s26, s6, s4
	s_addc_u32 s31, s7, s2
	s_add_u32 s2, s26, 4
	s_addc_u32 s3, s31, 0
	v_pk_mov_b32 v[0:1], s[0:1], s[0:1] op_sel:[0,1]
	s_add_u32 s0, s6, 16
	s_addc_u32 s1, s7, 0
	v_cmp_ge_u64_e32 vcc, s[2:3], v[0:1]
	s_add_u32 s2, s26, 16
	s_addc_u32 s3, s31, 0
	v_pk_mov_b32 v[0:1], s[0:1], s[0:1] op_sel:[0,1]
	v_cmp_ge_u64_e64 s[0:1], s[2:3], v[0:1]
	s_add_u32 s2, s6, 52
	s_addc_u32 s3, s7, 0
	s_add_u32 s4, s26, 52
	s_addc_u32 s5, s31, 0
	v_pk_mov_b32 v[0:1], s[2:3], s[2:3] op_sel:[0,1]
	v_cmp_ge_u64_e64 s[2:3], s[4:5], v[0:1]
	s_add_u32 s4, s6, 32
	s_addc_u32 s5, s7, 0
	s_add_u32 s36, s26, 32
	s_addc_u32 s37, s31, 0
	s_and_b64 s[34:35], s[34:35], vcc
	v_pk_mov_b32 v[0:1], s[4:5], s[4:5] op_sel:[0,1]
	s_and_b64 s[0:1], s[34:35], s[0:1]
	v_cmp_ge_u64_e64 s[4:5], s[36:37], v[0:1]
	s_and_b64 s[0:1], s[0:1], s[2:3]
	s_and_b64 s[0:1], s[0:1], s[4:5]
	s_mov_b32 s27, 0
	s_and_b64 vcc, exec, s[0:1]
	s_cbranch_vccz .LBB3_59
; %bb.15:
	s_and_b32 s0, s19, -2
	s_mov_b32 s1, 2
	s_mov_b32 s2, 1
	v_mov_b32_e32 v0, 0
	s_mov_b32 s3, s0
.LBB3_16:                               ; =>This Inner Loop Header: Depth=1
	s_mul_i32 s33, s2, 12
	s_mul_i32 s31, s1, 12
	s_add_i32 s34, s33, -8
	s_add_i32 s36, s31, -8
	s_ashr_i32 s35, s34, 31
	s_ashr_i32 s37, s36, 31
	s_lshl_b64 s[34:35], s[34:35], 2
	s_add_u32 s34, s6, s34
	s_addc_u32 s35, s7, s35
	s_lshl_b64 s[36:37], s[36:37], 2
	s_add_u32 s36, s6, s36
	s_addc_u32 s37, s7, s37
	s_add_i32 s38, s33, -4
	s_add_i32 s40, s31, -4
	s_ashr_i32 s39, s38, 31
	s_ashr_i32 s41, s40, 31
	s_lshl_b64 s[38:39], s[38:39], 2
	s_add_u32 s38, s6, s38
	s_addc_u32 s39, s7, s39
	s_lshl_b64 s[40:41], s[40:41], 2
	s_add_u32 s40, s6, s40
	s_addc_u32 s41, s7, s41
	s_or_b32 s26, s33, 1
	global_load_dword v2, v0, s[34:35]
	global_load_dword v4, v0, s[38:39]
	;; [unrolled: 1-line block ×3, first 2 shown]
	s_or_b32 s4, s31, 1
	s_lshl_b64 s[38:39], s[26:27], 2
	s_mov_b32 s5, s27
	s_add_u32 s38, s6, s38
	s_addc_u32 s39, s7, s39
	s_lshl_b64 s[4:5], s[4:5], 2
	s_add_u32 s4, s6, s4
	global_load_dword v3, v0, s[36:37]
	global_load_dword v6, v0, s[38:39]
	s_addc_u32 s5, s7, s5
	s_add_i32 s38, s33, -11
	s_add_i32 s40, s31, -11
	s_ashr_i32 s39, s38, 31
	s_ashr_i32 s41, s40, 31
	global_load_dword v7, v0, s[4:5]
	s_lshl_b64 s[4:5], s[38:39], 2
	s_add_u32 s4, s6, s4
	s_addc_u32 s5, s7, s5
	s_lshl_b64 s[38:39], s[40:41], 2
	s_add_u32 s38, s6, s38
	s_addc_u32 s39, s7, s39
	global_load_dword v8, v0, s[4:5]
	global_load_dword v9, v0, s[38:39]
	s_add_i32 s2, s2, 2
	s_add_i32 s1, s1, 2
	s_add_i32 s3, s3, -2
	s_cmp_lg_u32 s3, 0
	s_waitcnt vmcnt(0)
	v_pk_add_f32 v[6:7], v[6:7], v[8:9] neg_lo:[0,1] neg_hi:[0,1]
	v_pk_fma_f32 v[2:3], v[4:5], v[6:7], v[2:3] neg_lo:[1,0,0] neg_hi:[1,0,0]
	global_store_dword v0, v2, s[34:35]
	global_store_dword v0, v3, s[36:37]
	s_cbranch_scc1 .LBB3_16
; %bb.17:
	s_or_b32 s5, s19, 1
	s_cmp_lg_u32 s19, s0
	s_cselect_b64 s[0:1], -1, 0
.LBB3_18:
	s_and_b64 vcc, exec, s[0:1]
	s_cbranch_vccz .LBB3_21
.LBB3_19:
	s_add_u32 s2, s6, 4
	s_addc_u32 s3, s7, 0
	s_sub_i32 s4, s16, s5
	s_mul_i32 s0, s5, 12
	v_mov_b32_e32 v0, 0
	s_mov_b32 s1, 0
.LBB3_20:                               ; =>This Inner Loop Header: Depth=1
	s_add_i32 s26, s0, -8
	s_ashr_i32 s27, s26, 31
	s_lshl_b64 s[26:27], s[26:27], 2
	s_add_u32 s26, s6, s26
	s_addc_u32 s27, s7, s27
	s_add_i32 s34, s0, -4
	s_ashr_i32 s35, s34, 31
	s_lshl_b64 s[34:35], s[34:35], 2
	s_add_u32 s34, s6, s34
	s_addc_u32 s35, s7, s35
	s_lshl_b64 s[36:37], s[0:1], 2
	s_add_u32 s36, s2, s36
	s_addc_u32 s37, s3, s37
	global_load_dword v1, v0, s[26:27]
	global_load_dword v2, v0, s[34:35]
	;; [unrolled: 1-line block ×3, first 2 shown]
	s_add_i32 s34, s0, -11
	s_ashr_i32 s35, s34, 31
	s_lshl_b64 s[34:35], s[34:35], 2
	s_add_u32 s34, s6, s34
	s_addc_u32 s35, s7, s35
	global_load_dword v4, v0, s[34:35]
	s_add_i32 s4, s4, -1
	s_add_i32 s0, s0, 12
	s_cmp_lg_u32 s4, 0
	s_waitcnt vmcnt(0)
	v_sub_f32_e32 v3, v3, v4
	v_fma_f32 v1, -v2, v3, v1
	global_store_dword v0, v1, s[26:27]
	s_cbranch_scc1 .LBB3_20
.LBB3_21:
	s_cmp_lt_i32 s17, 1
	s_cselect_b64 s[0:1], -1, 0
	s_or_b64 s[0:1], s[22:23], s[0:1]
	s_and_b64 vcc, exec, s[0:1]
	s_cbranch_vccnz .LBB3_24
; %bb.22:
	s_mul_i32 s2, s16, 12
	s_mov_b32 s0, 0
	v_mov_b32_e32 v0, 0
	s_mov_b32 s3, s17
.LBB3_23:                               ; =>This Inner Loop Header: Depth=1
	s_ashr_i32 s1, s0, 31
	s_lshl_b64 s[4:5], s[0:1], 2
	s_add_u32 s4, s6, s4
	s_addc_u32 s5, s7, s5
	global_load_dword v1, v0, s[4:5] offset:32
	global_load_dword v2, v0, s[4:5] offset:52
	;; [unrolled: 1-line block ×4, first 2 shown]
	s_add_i32 s3, s3, -1
	s_add_i32 s0, s0, s2
	s_cmp_lg_u32 s3, 0
	s_waitcnt vmcnt(1)
	v_sub_f32_e32 v2, v2, v3
	s_waitcnt vmcnt(0)
	v_fma_f32 v1, -v1, v2, v4
	global_store_dword v0, v1, s[4:5] offset:16
	s_cbranch_scc1 .LBB3_23
.LBB3_24:
	s_load_dword s22, s[12:13], 0x0
	s_add_i32 s17, s17, -1
	s_waitcnt lgkmcnt(0)
	s_cmp_lt_i32 s22, s17
	s_cselect_b64 s[0:1], -1, 0
	s_xor_b64 s[2:3], s[24:25], -1
	s_or_b64 s[0:1], s[0:1], s[2:3]
	s_and_b64 vcc, exec, s[0:1]
	s_cbranch_vccnz .LBB3_27
; %bb.25:
	s_mul_i32 s0, s16, s17
	s_add_u32 s2, s6, 4
	s_mul_i32 s0, s0, 12
	s_addc_u32 s3, s7, 0
	s_add_i32 s0, s0, 12
	v_mov_b32_e32 v0, 0
	s_mov_b32 s4, s19
.LBB3_26:                               ; =>This Inner Loop Header: Depth=1
	s_add_i32 s24, s0, -8
	s_ashr_i32 s25, s24, 31
	s_lshl_b64 s[24:25], s[24:25], 2
	s_add_u32 s24, s6, s24
	s_addc_u32 s25, s7, s25
	s_add_i32 s26, s0, -4
	s_ashr_i32 s27, s26, 31
	s_lshl_b64 s[26:27], s[26:27], 2
	s_add_u32 s26, s6, s26
	s_addc_u32 s27, s7, s27
	s_ashr_i32 s1, s0, 31
	s_lshl_b64 s[34:35], s[0:1], 2
	global_load_dword v1, v0, s[24:25]
	global_load_dword v2, v0, s[26:27]
	s_add_u32 s26, s2, s34
	s_addc_u32 s27, s3, s35
	s_add_i32 s34, s0, -11
	s_ashr_i32 s35, s34, 31
	global_load_dword v3, v0, s[26:27]
	s_lshl_b64 s[26:27], s[34:35], 2
	s_add_u32 s26, s6, s26
	s_addc_u32 s27, s7, s27
	global_load_dword v4, v0, s[26:27]
	s_add_i32 s4, s4, -1
	s_add_i32 s0, s0, 12
	s_cmp_lg_u32 s4, 0
	s_waitcnt vmcnt(0)
	v_sub_f32_e32 v3, v3, v4
	v_fma_f32 v1, -v2, v3, v1
	global_store_dword v0, v1, s[24:25]
	s_cbranch_scc1 .LBB3_26
.LBB3_27:
	s_cmp_gt_i32 s28, s30
	s_cselect_b64 s[0:1], -1, 0
	s_or_b64 s[0:1], s[20:21], s[0:1]
	s_and_b64 vcc, exec, s[0:1]
	s_cbranch_vccnz .LBB3_34
; %bb.28:
	s_add_i32 s0, s29, 1
	s_mul_i32 s0, s16, s0
	s_mul_i32 s0, s0, 12
	;; [unrolled: 1-line block ×3, first 2 shown]
	s_add_i32 s0, s0, s1
	s_add_i32 s20, s28, -1
	s_add_i32 s0, s0, -11
	v_mov_b32_e32 v0, 0
	s_branch .LBB3_30
.LBB3_29:                               ;   in Loop: Header=BB3_30 Depth=1
	s_andn2_b64 vcc, exec, s[4:5]
	s_cbranch_vccz .LBB3_32
.LBB3_30:                               ; =>This Inner Loop Header: Depth=1
	s_ashr_i32 s1, s0, 31
	s_lshl_b64 s[2:3], s[0:1], 2
	s_add_u32 s2, s6, s2
	s_addc_u32 s3, s7, s3
	global_load_dword v1, v0, s[2:3]
	s_mov_b64 s[2:3], -1
	s_waitcnt vmcnt(0)
	v_cmp_ngt_f32_e64 s[4:5], |v1|, s18
	s_and_b64 vcc, exec, s[4:5]
	s_mov_b64 s[4:5], -1
	s_cbranch_vccz .LBB3_29
; %bb.31:                               ;   in Loop: Header=BB3_30 Depth=1
	s_add_i32 s20, s20, 1
	s_add_i32 s0, s0, 12
	s_cmp_ge_i32 s20, s30
	s_mov_b64 s[2:3], 0
	s_cselect_b64 s[4:5], -1, 0
	s_branch .LBB3_29
.LBB3_32:
	s_and_b64 vcc, exec, s[2:3]
	s_cbranch_vccz .LBB3_34
; %bb.33:
	s_add_i32 s0, s29, -1
	v_mov_b32_e32 v0, 0
	v_mov_b32_e32 v1, s0
	global_store_dword v0, v1, s[8:9]
	global_load_dword v1, v0, s[12:13]
	s_nop 0
	global_load_dword v2, v0, s[10:11]
	s_waitcnt vmcnt(1)
	v_readfirstlane_b32 s22, v1
	s_waitcnt vmcnt(0)
	v_readfirstlane_b32 s28, v2
.LBB3_34:
	s_cmp_ge_i32 s22, s17
	s_cbranch_scc1 .LBB3_42
; %bb.35:
	v_mov_b32_e32 v0, 0
	global_load_dword v1, v0, s[14:15]
	s_waitcnt vmcnt(0)
	v_cmp_gt_i32_e32 vcc, s28, v1
	s_cbranch_vccnz .LBB3_42
; %bb.36:
	s_add_i32 s0, s22, -3
	s_mul_i32 s0, s16, s0
	s_mul_i32 s0, s0, 12
	;; [unrolled: 1-line block ×3, first 2 shown]
	s_add_i32 s0, s0, s1
	s_add_i32 s17, s28, -1
	s_add_i32 s0, s0, -11
	s_branch .LBB3_38
.LBB3_37:                               ;   in Loop: Header=BB3_38 Depth=1
	s_andn2_b64 vcc, exec, s[4:5]
	s_cbranch_vccz .LBB3_40
.LBB3_38:                               ; =>This Inner Loop Header: Depth=1
	s_ashr_i32 s1, s0, 31
	s_lshl_b64 s[2:3], s[0:1], 2
	s_add_u32 s2, s6, s2
	s_addc_u32 s3, s7, s3
	global_load_dword v2, v0, s[2:3]
	s_mov_b64 s[2:3], -1
	s_waitcnt vmcnt(0)
	v_cmp_ngt_f32_e64 s[4:5], |v2|, s18
	s_and_b64 vcc, exec, s[4:5]
	s_mov_b64 s[4:5], -1
	s_cbranch_vccz .LBB3_37
; %bb.39:                               ;   in Loop: Header=BB3_38 Depth=1
	s_add_i32 s17, s17, 1
	s_add_i32 s0, s0, 12
	s_mov_b64 s[2:3], 0
	v_cmp_ge_i32_e64 s[4:5], s17, v1
	s_branch .LBB3_37
.LBB3_40:
	s_and_b64 vcc, exec, s[2:3]
	s_cbranch_vccz .LBB3_42
; %bb.41:
	s_add_i32 s22, s22, 1
	v_mov_b32_e32 v0, 0
	v_mov_b32_e32 v1, s22
	global_store_dword v0, v1, s[12:13]
	global_load_dword v0, v0, s[10:11]
	s_waitcnt vmcnt(0)
	v_readfirstlane_b32 s28, v0
.LBB3_42:
	s_cmp_lt_i32 s28, 3
	s_cbranch_scc1 .LBB3_50
; %bb.43:
	v_mov_b32_e32 v0, 0
	global_load_dword v1, v0, s[8:9]
	s_waitcnt vmcnt(0)
	v_cmp_lt_i32_e32 vcc, s22, v1
	v_readfirstlane_b32 s0, v1
	s_cbranch_vccnz .LBB3_50
; %bb.44:
	s_add_u32 s17, s6, 52
	s_addc_u32 s20, s7, 0
	s_add_i32 s21, s0, -1
	s_mul_i32 s23, s16, 12
	s_mul_i32 s0, s23, s21
	;; [unrolled: 1-line block ×3, first 2 shown]
	s_add_i32 s0, s0, s1
	s_branch .LBB3_46
.LBB3_45:                               ;   in Loop: Header=BB3_46 Depth=1
	s_andn2_b64 vcc, exec, s[4:5]
	s_cbranch_vccz .LBB3_48
.LBB3_46:                               ; =>This Inner Loop Header: Depth=1
	s_ashr_i32 s1, s0, 31
	s_lshl_b64 s[2:3], s[0:1], 2
	s_add_u32 s2, s17, s2
	s_addc_u32 s3, s20, s3
	global_load_dword v1, v0, s[2:3]
	s_mov_b64 s[2:3], -1
	s_waitcnt vmcnt(0)
	v_cmp_ngt_f32_e64 s[4:5], |v1|, s18
	s_and_b64 vcc, exec, s[4:5]
	s_mov_b64 s[4:5], -1
	s_cbranch_vccz .LBB3_45
; %bb.47:                               ;   in Loop: Header=BB3_46 Depth=1
	s_add_i32 s21, s21, 1
	s_add_i32 s0, s0, s23
	s_cmp_ge_i32 s21, s22
	s_mov_b64 s[2:3], 0
	s_cselect_b64 s[4:5], -1, 0
	s_branch .LBB3_45
.LBB3_48:
	s_and_b64 vcc, exec, s[2:3]
	s_cbranch_vccz .LBB3_50
; %bb.49:
	s_add_i32 s0, s28, -1
	v_mov_b32_e32 v0, 0
	v_mov_b32_e32 v1, s0
	global_store_dword v0, v1, s[10:11]
.LBB3_50:
	v_mov_b32_e32 v1, 0
	global_load_dword v0, v1, s[14:15]
	s_waitcnt vmcnt(0)
	v_cmp_le_i32_e32 vcc, s19, v0
	v_readfirstlane_b32 s10, v0
	s_cbranch_vccnz .LBB3_58
; %bb.51:
	global_load_dword v2, v1, s[8:9]
	global_load_dword v0, v1, s[12:13]
	s_waitcnt vmcnt(1)
	v_readfirstlane_b32 s0, v2
	s_waitcnt vmcnt(0)
	v_cmp_gt_i32_e32 vcc, v2, v0
	s_cbranch_vccnz .LBB3_58
; %bb.52:
	s_add_i32 s8, s0, -1
	s_mul_i32 s9, s16, 12
	s_mul_i32 s0, s9, s8
	;; [unrolled: 1-line block ×3, first 2 shown]
	s_add_i32 s0, s0, s1
	s_sub_i32 s0, s0, 35
	v_mov_b32_e32 v1, 0
	s_branch .LBB3_54
.LBB3_53:                               ;   in Loop: Header=BB3_54 Depth=1
	s_andn2_b64 vcc, exec, s[4:5]
	s_cbranch_vccz .LBB3_56
.LBB3_54:                               ; =>This Inner Loop Header: Depth=1
	s_ashr_i32 s1, s0, 31
	s_lshl_b64 s[2:3], s[0:1], 2
	s_add_u32 s2, s6, s2
	s_addc_u32 s3, s7, s3
	global_load_dword v2, v1, s[2:3]
	s_mov_b64 s[2:3], -1
	s_waitcnt vmcnt(0)
	v_cmp_ngt_f32_e64 s[4:5], |v2|, s18
	s_and_b64 vcc, exec, s[4:5]
	s_mov_b64 s[4:5], -1
	s_cbranch_vccz .LBB3_53
; %bb.55:                               ;   in Loop: Header=BB3_54 Depth=1
	s_add_i32 s8, s8, 1
	s_add_i32 s0, s0, s9
	s_mov_b64 s[2:3], 0
	v_cmp_ge_i32_e64 s[4:5], s8, v0
	s_branch .LBB3_53
.LBB3_56:
	s_and_b64 vcc, exec, s[2:3]
	s_cbranch_vccz .LBB3_58
; %bb.57:
	s_add_i32 s0, s10, 1
	v_mov_b32_e32 v0, 0
	v_mov_b32_e32 v1, s0
	global_store_dword v0, v1, s[14:15]
.LBB3_58:
	s_endpgm
.LBB3_59:
	s_mov_b32 s5, 1
	s_cbranch_execnz .LBB3_19
	s_branch .LBB3_21
	.section	.rodata,"a",@progbits
	.p2align	6, 0x0
	.amdhsa_kernel _Z7kernel4PfPKfS1_S1_S1_PiS2_S2_S2_iif
		.amdhsa_group_segment_fixed_size 0
		.amdhsa_private_segment_fixed_size 0
		.amdhsa_kernarg_size 84
		.amdhsa_user_sgpr_count 6
		.amdhsa_user_sgpr_private_segment_buffer 1
		.amdhsa_user_sgpr_dispatch_ptr 0
		.amdhsa_user_sgpr_queue_ptr 0
		.amdhsa_user_sgpr_kernarg_segment_ptr 1
		.amdhsa_user_sgpr_dispatch_id 0
		.amdhsa_user_sgpr_flat_scratch_init 0
		.amdhsa_user_sgpr_kernarg_preload_length 0
		.amdhsa_user_sgpr_kernarg_preload_offset 0
		.amdhsa_user_sgpr_private_segment_size 0
		.amdhsa_uses_dynamic_stack 0
		.amdhsa_system_sgpr_private_segment_wavefront_offset 0
		.amdhsa_system_sgpr_workgroup_id_x 1
		.amdhsa_system_sgpr_workgroup_id_y 0
		.amdhsa_system_sgpr_workgroup_id_z 0
		.amdhsa_system_sgpr_workgroup_info 0
		.amdhsa_system_vgpr_workitem_id 0
		.amdhsa_next_free_vgpr 10
		.amdhsa_next_free_sgpr 42
		.amdhsa_accum_offset 12
		.amdhsa_reserve_vcc 1
		.amdhsa_reserve_flat_scratch 0
		.amdhsa_float_round_mode_32 0
		.amdhsa_float_round_mode_16_64 0
		.amdhsa_float_denorm_mode_32 3
		.amdhsa_float_denorm_mode_16_64 3
		.amdhsa_dx10_clamp 1
		.amdhsa_ieee_mode 1
		.amdhsa_fp16_overflow 0
		.amdhsa_tg_split 0
		.amdhsa_exception_fp_ieee_invalid_op 0
		.amdhsa_exception_fp_denorm_src 0
		.amdhsa_exception_fp_ieee_div_zero 0
		.amdhsa_exception_fp_ieee_overflow 0
		.amdhsa_exception_fp_ieee_underflow 0
		.amdhsa_exception_fp_ieee_inexact 0
		.amdhsa_exception_int_div_zero 0
	.end_amdhsa_kernel
	.text
.Lfunc_end3:
	.size	_Z7kernel4PfPKfS1_S1_S1_PiS2_S2_S2_iif, .Lfunc_end3-_Z7kernel4PfPKfS1_S1_S1_PiS2_S2_S2_iif
                                        ; -- End function
	.section	.AMDGPU.csdata,"",@progbits
; Kernel info:
; codeLenInByte = 2420
; NumSgprs: 46
; NumVgprs: 10
; NumAgprs: 0
; TotalNumVgprs: 10
; ScratchSize: 0
; MemoryBound: 0
; FloatMode: 240
; IeeeMode: 1
; LDSByteSize: 0 bytes/workgroup (compile time only)
; SGPRBlocks: 5
; VGPRBlocks: 1
; NumSGPRsForWavesPerEU: 46
; NumVGPRsForWavesPerEU: 10
; AccumOffset: 12
; Occupancy: 8
; WaveLimiterHint : 0
; COMPUTE_PGM_RSRC2:SCRATCH_EN: 0
; COMPUTE_PGM_RSRC2:USER_SGPR: 6
; COMPUTE_PGM_RSRC2:TRAP_HANDLER: 0
; COMPUTE_PGM_RSRC2:TGID_X_EN: 1
; COMPUTE_PGM_RSRC2:TGID_Y_EN: 0
; COMPUTE_PGM_RSRC2:TGID_Z_EN: 0
; COMPUTE_PGM_RSRC2:TIDIG_COMP_CNT: 0
; COMPUTE_PGM_RSRC3_GFX90A:ACCUM_OFFSET: 2
; COMPUTE_PGM_RSRC3_GFX90A:TG_SPLIT: 0
	.text
	.p2alignl 6, 3212836864
	.fill 256, 4, 3212836864
	.type	__hip_cuid_10080151d4f8f431,@object ; @__hip_cuid_10080151d4f8f431
	.section	.bss,"aw",@nobits
	.globl	__hip_cuid_10080151d4f8f431
__hip_cuid_10080151d4f8f431:
	.byte	0                               ; 0x0
	.size	__hip_cuid_10080151d4f8f431, 1

	.ident	"AMD clang version 19.0.0git (https://github.com/RadeonOpenCompute/llvm-project roc-6.4.0 25133 c7fe45cf4b819c5991fe208aaa96edf142730f1d)"
	.section	".note.GNU-stack","",@progbits
	.addrsig
	.addrsig_sym __hip_cuid_10080151d4f8f431
	.amdgpu_metadata
---
amdhsa.kernels:
  - .agpr_count:     0
    .args:
      - .address_space:  global
        .offset:         0
        .size:           8
        .value_kind:     global_buffer
      - .address_space:  global
        .offset:         8
        .size:           8
        .value_kind:     global_buffer
      - .offset:         16
        .size:           4
        .value_kind:     by_value
      - .offset:         20
        .size:           4
        .value_kind:     by_value
      - .offset:         24
        .size:           4
        .value_kind:     by_value
      - .offset:         28
        .size:           4
        .value_kind:     by_value
      - .offset:         32
        .size:           4
        .value_kind:     by_value
      - .offset:         36
        .size:           4
        .value_kind:     by_value
      - .offset:         40
        .size:           4
        .value_kind:     by_value
      - .offset:         44
        .size:           4
        .value_kind:     by_value
      - .offset:         48
        .size:           4
        .value_kind:     hidden_block_count_x
      - .offset:         52
        .size:           4
        .value_kind:     hidden_block_count_y
      - .offset:         56
        .size:           4
        .value_kind:     hidden_block_count_z
      - .offset:         60
        .size:           2
        .value_kind:     hidden_group_size_x
      - .offset:         62
        .size:           2
        .value_kind:     hidden_group_size_y
      - .offset:         64
        .size:           2
        .value_kind:     hidden_group_size_z
      - .offset:         66
        .size:           2
        .value_kind:     hidden_remainder_x
      - .offset:         68
        .size:           2
        .value_kind:     hidden_remainder_y
      - .offset:         70
        .size:           2
        .value_kind:     hidden_remainder_z
      - .offset:         88
        .size:           8
        .value_kind:     hidden_global_offset_x
      - .offset:         96
        .size:           8
        .value_kind:     hidden_global_offset_y
      - .offset:         104
        .size:           8
        .value_kind:     hidden_global_offset_z
      - .offset:         112
        .size:           2
        .value_kind:     hidden_grid_dims
    .group_segment_fixed_size: 0
    .kernarg_segment_align: 8
    .kernarg_segment_size: 304
    .language:       OpenCL C
    .language_version:
      - 2
      - 0
    .max_flat_workgroup_size: 1024
    .name:           _Z6kernelPfS_iiiiiffi
    .private_segment_fixed_size: 0
    .sgpr_count:     20
    .sgpr_spill_count: 0
    .symbol:         _Z6kernelPfS_iiiiiffi.kd
    .uniform_work_group_size: 1
    .uses_dynamic_stack: false
    .vgpr_count:     14
    .vgpr_spill_count: 0
    .wavefront_size: 64
  - .agpr_count:     0
    .args:
      - .address_space:  global
        .offset:         0
        .size:           8
        .value_kind:     global_buffer
      - .address_space:  global
        .offset:         8
        .size:           8
        .value_kind:     global_buffer
      - .address_space:  global
        .offset:         16
        .size:           8
        .value_kind:     global_buffer
      - .address_space:  global
        .offset:         24
        .size:           8
        .value_kind:     global_buffer
      - .address_space:  global
        .offset:         32
        .size:           8
        .value_kind:     global_buffer
      - .offset:         40
        .size:           4
        .value_kind:     by_value
      - .offset:         44
        .size:           4
        .value_kind:     by_value
      - .offset:         48
        .size:           4
        .value_kind:     by_value
      - .offset:         52
        .size:           4
        .value_kind:     by_value
      - .offset:         56
        .size:           4
        .value_kind:     by_value
      - .offset:         60
        .size:           4
        .value_kind:     by_value
    .group_segment_fixed_size: 0
    .kernarg_segment_align: 8
    .kernarg_segment_size: 64
    .language:       OpenCL C
    .language_version:
      - 2
      - 0
    .max_flat_workgroup_size: 1024
    .name:           _Z7kernel2PfPKfS1_S1_S1_iiiiii
    .private_segment_fixed_size: 0
    .sgpr_count:     50
    .sgpr_spill_count: 0
    .symbol:         _Z7kernel2PfPKfS1_S1_S1_iiiiii.kd
    .uniform_work_group_size: 1
    .uses_dynamic_stack: false
    .vgpr_count:     31
    .vgpr_spill_count: 0
    .wavefront_size: 64
  - .agpr_count:     0
    .args:
      - .address_space:  global
        .offset:         0
        .size:           8
        .value_kind:     global_buffer
      - .address_space:  global
        .offset:         8
        .size:           8
        .value_kind:     global_buffer
      - .offset:         16
        .size:           4
        .value_kind:     by_value
      - .offset:         20
        .size:           4
        .value_kind:     by_value
      - .offset:         24
        .size:           4
        .value_kind:     by_value
      - .offset:         28
        .size:           4
        .value_kind:     by_value
      - .offset:         32
        .size:           4
        .value_kind:     by_value
      - .offset:         40
        .size:           4
        .value_kind:     hidden_block_count_x
      - .offset:         44
        .size:           4
        .value_kind:     hidden_block_count_y
      - .offset:         48
        .size:           4
        .value_kind:     hidden_block_count_z
      - .offset:         52
        .size:           2
        .value_kind:     hidden_group_size_x
      - .offset:         54
        .size:           2
        .value_kind:     hidden_group_size_y
      - .offset:         56
        .size:           2
        .value_kind:     hidden_group_size_z
      - .offset:         58
        .size:           2
        .value_kind:     hidden_remainder_x
      - .offset:         60
        .size:           2
        .value_kind:     hidden_remainder_y
      - .offset:         62
        .size:           2
        .value_kind:     hidden_remainder_z
      - .offset:         80
        .size:           8
        .value_kind:     hidden_global_offset_x
      - .offset:         88
        .size:           8
        .value_kind:     hidden_global_offset_y
      - .offset:         96
        .size:           8
        .value_kind:     hidden_global_offset_z
      - .offset:         104
        .size:           2
        .value_kind:     hidden_grid_dims
    .group_segment_fixed_size: 0
    .kernarg_segment_align: 8
    .kernarg_segment_size: 296
    .language:       OpenCL C
    .language_version:
      - 2
      - 0
    .max_flat_workgroup_size: 1024
    .name:           _Z7kernel3PfS_iiiii
    .private_segment_fixed_size: 0
    .sgpr_count:     14
    .sgpr_spill_count: 0
    .symbol:         _Z7kernel3PfS_iiiii.kd
    .uniform_work_group_size: 1
    .uses_dynamic_stack: false
    .vgpr_count:     10
    .vgpr_spill_count: 0
    .wavefront_size: 64
  - .agpr_count:     0
    .args:
      - .address_space:  global
        .offset:         0
        .size:           8
        .value_kind:     global_buffer
      - .address_space:  global
        .offset:         8
        .size:           8
        .value_kind:     global_buffer
      - .address_space:  global
        .offset:         16
        .size:           8
        .value_kind:     global_buffer
      - .address_space:  global
        .offset:         24
        .size:           8
        .value_kind:     global_buffer
      - .address_space:  global
        .offset:         32
        .size:           8
        .value_kind:     global_buffer
      - .address_space:  global
        .offset:         40
        .size:           8
        .value_kind:     global_buffer
      - .address_space:  global
        .offset:         48
        .size:           8
        .value_kind:     global_buffer
      - .address_space:  global
        .offset:         56
        .size:           8
        .value_kind:     global_buffer
      - .address_space:  global
        .offset:         64
        .size:           8
        .value_kind:     global_buffer
      - .offset:         72
        .size:           4
        .value_kind:     by_value
      - .offset:         76
        .size:           4
        .value_kind:     by_value
      - .offset:         80
        .size:           4
        .value_kind:     by_value
    .group_segment_fixed_size: 0
    .kernarg_segment_align: 8
    .kernarg_segment_size: 84
    .language:       OpenCL C
    .language_version:
      - 2
      - 0
    .max_flat_workgroup_size: 1024
    .name:           _Z7kernel4PfPKfS1_S1_S1_PiS2_S2_S2_iif
    .private_segment_fixed_size: 0
    .sgpr_count:     46
    .sgpr_spill_count: 0
    .symbol:         _Z7kernel4PfPKfS1_S1_S1_PiS2_S2_S2_iif.kd
    .uniform_work_group_size: 1
    .uses_dynamic_stack: false
    .vgpr_count:     10
    .vgpr_spill_count: 0
    .wavefront_size: 64
amdhsa.target:   amdgcn-amd-amdhsa--gfx90a
amdhsa.version:
  - 1
  - 2
...

	.end_amdgpu_metadata
